;; amdgpu-corpus repo=ROCm/aiter kind=harvested arch=n/a opt=n/a

/root/src/amdgpu-assembly/repos/ROCm__aiter/hsa/gfx950/fmoe/gelu/fmoe_bf16_blockscaleBf16_g1u1_vs_1tg_gelu_16x128.co:	file format elf64-amdgpu

Disassembly of section .text:

0000000000002e00 <_ZN5aiter48fmoe_bf16_blockscaleBf16_g1u1_vs_pf2_gelu_16x128E>:
	s_and_b32 s1, s1, 0xffff                                   // 000000002E00: 8601FF01 0000FFFF
	s_load_dwordx2 s[8:9], s[0:1], 0x0                         // 000000002E08: C0060200 00000000
	s_load_dwordx2 s[20:21], s[0:1], 0x10                      // 000000002E10: C0060500 00000010
	s_load_dwordx2 s[24:25], s[0:1], 0x20                      // 000000002E18: C0060600 00000020
	s_load_dwordx2 s[50:51], s[0:1], 0x30                      // 000000002E20: C0060C80 00000030
	s_load_dwordx2 s[12:13], s[0:1], 0x40                      // 000000002E28: C0060300 00000040
	s_load_dwordx2 s[28:29], s[0:1], 0x50                      // 000000002E30: C0060700 00000050
	s_load_dwordx2 s[32:33], s[0:1], 0x60                      // 000000002E38: C0060800 00000060
	s_load_dwordx2 s[16:17], s[0:1], 0x70                      // 000000002E40: C0060400 00000070
	s_load_dwordx2 s[36:37], s[0:1], 0x80                      // 000000002E48: C0060900 00000080
	s_load_dwordx2 s[44:45], s[0:1], 0x90                      // 000000002E50: C0060B00 00000090
	s_load_dwordx2 s[40:41], s[0:1], 0xa0                      // 000000002E58: C0060A00 000000A0
	s_load_dwordx2 s[46:47], s[0:1], 0xb0                      // 000000002E60: C0060B80 000000B0
	s_load_dword s64, s[0:1], 0xc0                             // 000000002E68: C0021000 000000C0
	s_load_dword s65, s[0:1], 0xd0                             // 000000002E70: C0021040 000000D0
	s_load_dword s66, s[0:1], 0xe0                             // 000000002E78: C0021080 000000E0
	s_load_dword s67, s[0:1], 0xf0                             // 000000002E80: C00210C0 000000F0
	s_load_dword s68, s[0:1], 0x100                            // 000000002E88: C0021100 00000100
	s_load_dword s69, s[0:1], 0x110                            // 000000002E90: C0021140 00000110
	s_load_dword s70, s[0:1], 0x120                            // 000000002E98: C0021180 00000120
	s_load_dword s71, s[0:1], 0x130                            // 000000002EA0: C00211C0 00000130
	s_load_dword s72, s[0:1], 0x140                            // 000000002EA8: C0021200 00000140
	s_load_dword s73, s[0:1], 0x150                            // 000000002EB0: C0021240 00000150
	s_load_dword s74, s[0:1], 0x160                            // 000000002EB8: C0021280 00000160
	s_load_dword s75, s[0:1], 0x170                            // 000000002EC0: C00212C0 00000170
	s_load_dword s76, s[0:1], 0x180                            // 000000002EC8: C0021300 00000180
	v_lshrrev_b32_e32 v1, 10, v0                               // 000000002ED0: 2002008A
	v_lshrrev_b32_e32 v2, 10, v1                               // 000000002ED4: 2004028A
	v_and_b32_e32 v2, 0x3ff, v2                                // 000000002ED8: 260404FF 000003FF
	v_and_b32_e32 v1, 0x3ff, v1                                // 000000002EE0: 260202FF 000003FF
	v_and_b32_e32 v0, 0x3ff, v0                                // 000000002EE8: 260000FF 000003FF
	v_lshrrev_b32_e32 v3, 6, v0                                // 000000002EF0: 20060086
	v_and_b32_e32 v0, 63, v0                                   // 000000002EF4: 260000BF
	s_mov_b32 s2, s2                                           // 000000002EF8: BE820002
	s_mov_b32 s3, s3                                           // 000000002EFC: BE830003
	s_mov_b32 s4, s4                                           // 000000002F00: BE840004
	v_readfirstlane_b32 s7, v3                                 // 000000002F04: 7E0E0503
	s_waitcnt lgkmcnt(0)                                       // 000000002F08: BF8CC07F
	s_and_b32 s51, s51, 0xffff                                 // 000000002F0C: 8633FF33 0000FFFF
	s_load_dword s50, s[50:51], 0x0                            // 000000002F14: C0020C99 00000000
	s_and_b32 s45, s45, 0xffff                                 // 000000002F1C: 862DFF2D 0000FFFF
	s_and_b32 s47, s47, 0xffff                                 // 000000002F24: 862FFF2F 0000FFFF
	s_and_b32 s9, s9, 0xffff                                   // 000000002F2C: 8609FF09 0000FFFF
	s_mul_i32 s60, s66, s68                                    // 000000002F34: 923C4442
	s_mul_i32 s61, s66, 4                                      // 000000002F38: 923D8442
	s_mov_b32 s22, s60                                         // 000000002F3C: BE96003C
	s_mov_b32 s26, -16                                         // 000000002F40: BE9A00D0
	s_mov_b32 s14, -16                                         // 000000002F44: BE8E00D0
	s_mov_b32 s42, -16                                         // 000000002F48: BEAA00D0
	s_mov_b32 s30, -16                                         // 000000002F4C: BE9E00D0
	s_mov_b32 s34, -16                                         // 000000002F50: BEA200D0
	s_mov_b32 s38, -16                                         // 000000002F54: BEA600D0
	s_mov_b32 s18, -16                                         // 000000002F58: BE9200D0
	s_mul_i32 s60, s66, s71                                    // 000000002F5C: 923C4742
	s_mov_b32 s10, s60                                         // 000000002F60: BE8A003C
	s_mov_b32 s23, 0x20000                                     // 000000002F64: BE9700FF 00020000
	s_mov_b32 s27, 0x20000                                     // 000000002F6C: BE9B00FF 00020000
	s_mov_b32 s15, 0x20000                                     // 000000002F74: BE8F00FF 00020000
	s_mov_b32 s43, 0x20000                                     // 000000002F7C: BEAB00FF 00020000
	s_mov_b32 s31, 0x20000                                     // 000000002F84: BE9F00FF 00020000
	s_mov_b32 s35, 0x20000                                     // 000000002F8C: BEA300FF 00020000
	s_mov_b32 s39, 0x20000                                     // 000000002F94: BEA700FF 00020000
	s_mov_b32 s19, 0x20000                                     // 000000002F9C: BE9300FF 00020000
	s_mov_b32 s11, 0x20000                                     // 000000002FA4: BE8B00FF 00020000
	s_and_b32 s21, s21, 0xffff                                 // 000000002FAC: 8615FF15 0000FFFF
	s_and_b32 s25, s25, 0xffff                                 // 000000002FB4: 8619FF19 0000FFFF
	s_and_b32 s13, s13, 0xffff                                 // 000000002FBC: 860DFF0D 0000FFFF
	s_and_b32 s41, s41, 0xffff                                 // 000000002FC4: 8629FF29 0000FFFF
	s_and_b32 s29, s29, 0xffff                                 // 000000002FCC: 861DFF1D 0000FFFF
	s_and_b32 s33, s33, 0xffff                                 // 000000002FD4: 8621FF21 0000FFFF
	s_and_b32 s37, s37, 0xffff                                 // 000000002FDC: 8625FF25 0000FFFF
	s_and_b32 s17, s17, 0xffff                                 // 000000002FE4: 8611FF11 0000FFFF
	s_or_b32 s21, s21, 0x40000                                 // 000000002FEC: 8715FF15 00040000
	s_or_b32 s25, s25, 0x40000                                 // 000000002FF4: 8719FF19 00040000
	s_or_b32 s13, s13, 0x40000                                 // 000000002FFC: 870DFF0D 00040000
	s_or_b32 s41, s41, 0x40000                                 // 000000003004: 8729FF29 00040000
	s_or_b32 s29, s29, 0x40000                                 // 00000000300C: 871DFF1D 00040000
	s_or_b32 s33, s33, 0x40000                                 // 000000003014: 8721FF21 00040000
	s_or_b32 s37, s37, 0x40000                                 // 00000000301C: 8725FF25 00040000
	s_or_b32 s17, s17, 0x40000                                 // 000000003024: 8711FF11 00040000
	v_accvgpr_write_b32 a127, 0                                // 00000000302C: D3D9407F 18000080
	v_mov_b32_e32 v143, 0                                      // 000000003034: 7F1E0280
	s_waitcnt lgkmcnt(0)                                       // 000000003038: BF8CC07F
	s_mul_i32 s60, s3, 16                                      // 00000000303C: 923C9003
	s_cmp_lt_i32 s60, s50                                      // 000000003040: BF04323C
	s_cbranch_scc0 label_11EF                                  // 000000003044: BF84115D
	s_lshr_b32 s60, s7, 1                                      // 000000003048: 8F3C8107
	s_lshl_b32 s60, s60, 3                                     // 00000000304C: 8E3C833C
	s_and_b32 s61, s7, 1                                       // 000000003050: 863D8107
	s_lshl_b32 s61, s61, 1                                     // 000000003054: 8E3D813D
	s_or_b32 s60, s60, s61                                     // 000000003058: 873C3D3C
	v_lshrrev_b32_e32 v42, 3, v0                               // 00000000305C: 20540083
	v_and_b32_e32 v43, 2, v42                                  // 000000003060: 26565482
	v_lshlrev_b32_e32 v43, 1, v43                              // 000000003064: 24565681
	v_and_b32_e32 v44, 1, v42                                  // 000000003068: 26585481
	v_or_b32_e32 v43, v43, v44                                 // 00000000306C: 2856592B
	v_add_u32_e32 v43, s60, v43                                // 000000003070: 6856563C
	v_and_b32_e32 v44, 3, v0                                   // 000000003074: 26580083
	v_lshlrev_b32_e32 v44, 4, v44                              // 000000003078: 24585884
	v_add_u32_e32 v43, v43, v44                                // 00000000307C: 6856592B
	v_lshrrev_b32_e32 v42, 5, v0                               // 000000003080: 20540085
	v_lshlrev_b32_e32 v42, 8, v42                              // 000000003084: 24545488
	v_lshlrev_b32_e32 v43, 2, v43                              // 000000003088: 24565682
	v_add_u32_e32 v29, v42, v43                                // 00000000308C: 683A572A
	s_mov_b32 s80, 0                                           // 000000003090: BED00080
	s_mov_b32 s81, s64                                         // 000000003094: BED10040
	s_mul_i32 s60, s3, 4                                       // 000000003098: 923C8403
	s_add_u32 s46, s60, s46                                    // 00000000309C: 802E2E3C
	s_addc_u32 s47, 0, s47                                     // 0000000030A0: 822F2F80
	s_load_dword s5, s[46:47], 0x0                             // 0000000030A4: C0020157 00000000
	s_mul_i32 s60, s3, 16                                      // 0000000030AC: 923C9003
	s_mul_i32 s60, 4, s60                                      // 0000000030B0: 923C3C84
	v_and_b32_e32 v42, 15, v0                                  // 0000000030B4: 2654008F
	v_lshlrev_b32_e32 v42, 2, v42                              // 0000000030B8: 24545482
	v_add_u32_e32 v42, s60, v42                                // 0000000030BC: 6854543C
	v_mov_b32_e32 v43, 0                                       // 0000000030C0: 7E560280
	global_load_dword v7, v42, s[44:45]                        // 0000000030C4: DC508000 072C002A
	s_mul_i32 s60, s3, 16                                      // 0000000030CC: 923C9003
	s_lshr_b32 s61, s7, 1                                      // 0000000030D0: 8F3D8107
	s_mul_i32 s61, s61, 8                                      // 0000000030D4: 923D883D
	s_add_u32 s60, s61, s60                                    // 0000000030D8: 803C3C3D
	s_and_b32 s61, s7, 1                                       // 0000000030DC: 863D8107
	s_mul_i32 s61, s61, 2                                      // 0000000030E0: 923D823D
	s_add_u32 s60, s61, s60                                    // 0000000030E4: 803C3C3D
	s_mul_i32 s60, 4, s60                                      // 0000000030E8: 923C3C84
	s_add_u32 s44, s60, s44                                    // 0000000030EC: 802C2C3C
	s_addc_u32 s45, 0, s45                                     // 0000000030F0: 822D2D80
	s_load_dword s82, s[44:45], 0x0                            // 0000000030F4: C0021496 00000000
	s_load_dword s83, s[44:45], 0x4                            // 0000000030FC: C00214D6 00000004
	s_load_dword s84, s[44:45], 0x10                           // 000000003104: C0021516 00000010
	s_load_dword s85, s[44:45], 0x14                           // 00000000310C: C0021556 00000014
	s_waitcnt lgkmcnt(0)                                       // 000000003114: BF8CC07F
	s_and_b32 s82, s82, 0xffffff                               // 000000003118: 8652FF52 00FFFFFF
	s_mul_i32 s62, s82, s68                                    // 000000003120: 923E4452
	s_lshl_b32 s60, 0xff, 0                                    // 000000003124: 8E3C80FF 000000FF
	s_mov_b32 s61, 0                                           // 00000000312C: BEBD0080
	s_lshl_b32 s61, 0xff, 0                                    // 000000003130: 8E3D80FF 000000FF
	s_mov_b64 exec, s[60:61]                                   // 000000003138: BEFE013C
	v_mov_b32_e32 v30, s62                                     // 00000000313C: 7E3C023E
	s_and_b32 s83, s83, 0xffffff                               // 000000003140: 8653FF53 00FFFFFF
	s_mul_i32 s62, s83, s68                                    // 000000003148: 923E4453
	s_lshl_b32 s60, 0xff, 8                                    // 00000000314C: 8E3C88FF 000000FF
	s_lshl_b32 s61, 0xff, 8                                    // 000000003154: 8E3D88FF 000000FF
	s_mov_b64 exec, s[60:61]                                   // 00000000315C: BEFE013C
	v_mov_b32_e32 v30, s62                                     // 000000003160: 7E3C023E
	s_and_b32 s84, s84, 0xffffff                               // 000000003164: 8654FF54 00FFFFFF
	s_mul_i32 s62, s84, s68                                    // 00000000316C: 923E4454
	s_lshl_b32 s60, 0xff, 16                                   // 000000003170: 8E3C90FF 000000FF
	s_lshl_b32 s61, 0xff, 16                                   // 000000003178: 8E3D90FF 000000FF
	s_mov_b64 exec, s[60:61]                                   // 000000003180: BEFE013C
	v_mov_b32_e32 v30, s62                                     // 000000003184: 7E3C023E
	s_and_b32 s85, s85, 0xffffff                               // 000000003188: 8655FF55 00FFFFFF
	s_mul_i32 s62, s85, s68                                    // 000000003190: 923E4455
	s_lshl_b32 s60, 0xff, 24                                   // 000000003194: 8E3C98FF 000000FF
	s_lshl_b32 s61, 0xff, 24                                   // 00000000319C: 8E3D98FF 000000FF
	s_mov_b64 exec, s[60:61]                                   // 0000000031A4: BEFE013C
	v_mov_b32_e32 v30, s62                                     // 0000000031A8: 7E3C023E
	s_mov_b32 s60, -1                                          // 0000000031AC: BEBC00C1
	s_mov_b32 s61, -1                                          // 0000000031B0: BEBD00C1
	s_mov_b64 exec, s[60:61]                                   // 0000000031B4: BEFE013C
	v_and_b32_e64 v42, v0, 7                                   // 0000000031B8: D113002A 00010F00
	v_lshlrev_b32_e32 v42, 5, v42                              // 0000000031C0: 24545485
	v_add_u32_e32 v30, v30, v42                                // 0000000031C4: 683C551E
	s_mov_b32 s62, 0x100                                       // 0000000031C8: BEBE00FF 00000100
	s_mov_b32 s60, 0                                           // 0000000031D0: BEBC0080
	s_mov_b32 s61, -1                                          // 0000000031D4: BEBD00C1
	s_mov_b64 exec, s[60:61]                                   // 0000000031D8: BEFE013C
	v_add_u32_e64 v30, v30, s62                                // 0000000031DC: D134001E 00007D1E
	s_mov_b64 exec, -1                                         // 0000000031E4: BEFE01C1
	v_lshlrev_b32_e32 v42, 2, v0                               // 0000000031E8: 24540082
	s_mul_i32 s60, s82, s71                                    // 0000000031EC: 923C4752
	v_add_u32_e64 v80, v42, s60                                // 0000000031F0: D1340050 0000792A
	v_mov_b32_e32 v81, 0                                       // 0000000031F8: 7EA20280
	s_mul_i32 s60, s83, s71                                    // 0000000031FC: 923C4753
	v_add_u32_e64 v82, v42, s60                                // 000000003200: D1340052 0000792A
	v_mov_b32_e32 v83, 0                                       // 000000003208: 7EA60280
	s_mul_i32 s60, s84, s71                                    // 00000000320C: 923C4754
	v_add_u32_e64 v84, v42, s60                                // 000000003210: D1340054 0000792A
	v_mov_b32_e32 v85, 0                                       // 000000003218: 7EAA0280
	s_mul_i32 s60, s85, s71                                    // 00000000321C: 923C4755
	v_add_u32_e64 v86, v42, s60                                // 000000003220: D1340056 0000792A
	v_mov_b32_e32 v87, 0                                       // 000000003228: 7EAE0280
	s_mul_i32 s60, s7, 0x420                                   // 00000000322C: 923CFF07 00000420
	s_add_u32 s50, 0, s60                                      // 000000003234: 80323C80
	s_add_u32 s51, 0x1500, s50                                 // 000000003238: 803332FF 00001500
	v_and_b32_e32 v42, 15, v0                                  // 000000003240: 2654008F
	v_lshrrev_b32_e32 v43, 3, v42                              // 000000003244: 20565483
	v_mul_lo_u32 v43, 2, v43                                   // 000000003248: D285002B 00025682
	v_and_b32_e32 v42, 3, v0                                   // 000000003250: 26540083
	v_lshrrev_b32_e32 v44, 1, v42                              // 000000003254: 20585481
	v_add_u32_e32 v42, v43, v44                                // 000000003258: 6854592B
	v_mul_i32_i24_e32 v2, 0x420, v42                           // 00000000325C: 0C0454FF 00000420
	v_and_b32_e32 v42, 7, v0                                   // 000000003264: 26540087
	v_lshrrev_b32_e32 v43, 2, v42                              // 000000003268: 20565482
	v_mul_i32_i24_e32 v43, 0x100, v43                          // 00000000326C: 0C5656FF 00000100
	v_and_b32_e32 v42, 1, v0                                   // 000000003274: 26540081
	v_mul_i32_i24_e32 v44, 0x80, v42                           // 000000003278: 0C5854FF 00000080
	v_add_u32_e32 v2, v43, v2                                  // 000000003280: 6804052B
	v_add_u32_e32 v2, v44, v2                                  // 000000003284: 6804052C
	v_lshrrev_b32_e32 v42, 4, v0                               // 000000003288: 20540084
	v_mul_lo_u32 v42, 16, v42                                  // 00000000328C: D285002A 00025490
	v_add_u32_e32 v2, v42, v2                                  // 000000003294: 6804052A
	s_mul_i32 s60, s2, 0x80                                    // 000000003298: 923CFF02 00000080
	s_mul_i32 s60, s60, s69                                    // 0000000032A0: 923C453C
	s_mul_i32 s61, s5, s72                                     // 0000000032A4: 923D4805
	s_add_u32 s60, s61, s60                                    // 0000000032A8: 803C3C3D
	s_add_u32 s24, s60, s24                                    // 0000000032AC: 8018183C
	s_addc_u32 s25, 0, s25                                     // 0000000032B0: 82191980
	s_mul_i32 s60, s7, 16                                      // 0000000032B4: 923C9007
	s_mul_i32 s60, s60, s69                                    // 0000000032B8: 923C453C
	v_lshlrev_b32_e32 v32, 4, v0                               // 0000000032BC: 24400084
	v_add_u32_e32 v32, s60, v32                                // 0000000032C0: 6840403C
	s_mul_i32 s60, 64, s69                                     // 0000000032C4: 923C45C0
	v_add_u32_e32 v33, s60, v32                                // 0000000032C8: 6842403C
	s_mov_b32 s92, s24                                         // 0000000032CC: BEDC0018
	s_mov_b32 s93, s25                                         // 0000000032D0: BEDD0019
	s_mov_b32 s94, s26                                         // 0000000032D4: BEDE001A
	s_mov_b32 s95, s27                                         // 0000000032D8: BEDF001B
	s_mul_i32 s60, s69, s65                                    // 0000000032DC: 923C4145
	s_add_u32 s92, s60, s92                                    // 0000000032E0: 805C5C3C
	s_addc_u32 s93, 0, s93                                     // 0000000032E4: 825D5D80
	s_mul_i32 s60, s2, 0x800                                   // 0000000032E8: 923CFF02 00000800
	s_mul_i32 s61, s5, s73                                     // 0000000032F0: 923D4905
	s_add_u32 s60, s61, s60                                    // 0000000032F4: 803C3C3D
	s_add_u32 s12, s60, s12                                    // 0000000032F8: 800C0C3C
	s_addc_u32 s13, 0, s13                                     // 0000000032FC: 820D0D80
	s_mul_i32 s60, s7, 16                                      // 000000003300: 923C9007
	s_mul_i32 s60, s60, s70                                    // 000000003304: 923C463C
	v_lshlrev_b32_e32 v34, 4, v0                               // 000000003308: 24440084
	v_add_u32_e32 v34, s60, v34                                // 00000000330C: 6844443C
	s_mul_i32 s60, 64, s70                                     // 000000003310: 923C46C0
	v_add_u32_e32 v35, s60, v34                                // 000000003314: 6846443C
	v_add_u32_e32 v36, s60, v35                                // 000000003318: 6848463C
	v_add_u32_e32 v37, s60, v36                                // 00000000331C: 684A483C
	s_mul_i32 s60, s70, 0x100                                  // 000000003320: 923CFF46 00000100
	s_mov_b32 s78, 0x800                                       // 000000003328: BECE00FF 00000800
	s_mul_i32 s61, s78, 0                                      // 000000003330: 923D804E
	s_sub_u32 s56, s60, s61                                    // 000000003334: 80B83D3C
	s_mul_i32 s60, s3, 16                                      // 000000003338: 923C9003
	s_mul_i32 s60, 4, s60                                      // 00000000333C: 923C3C84
	s_add_u32 s40, s60, s40                                    // 000000003340: 8028283C
	s_addc_u32 s41, 0, s41                                     // 000000003344: 82292980
	v_and_b32_e32 v42, 15, v0                                  // 000000003348: 2654008F
	v_lshlrev_b32_e32 v9, 2, v42                               // 00000000334C: 24125482
	v_add_u32_e32 v10, 64, v9                                  // 000000003350: 681412C0
	s_lshr_b32 s60, s64, 7                                     // 000000003354: 8F3C8740
	s_mul_i32 s61, s60, 4                                      // 000000003358: 923D843C
	v_and_b32_e64 v11, v0, 0                                   // 00000000335C: D113000B 00010100
	v_mul_lo_u32 v11, v11, s61                                 // 000000003364: D285000B 00007B0B
	v_and_b32_e64 v42, v0, 3                                   // 00000000336C: D113002A 00010700
	v_lshrrev_b32_e32 v42, 1, v42                              // 000000003374: 20545481
	v_mul_lo_u32 v42, 4, v42                                   // 000000003378: D285002A 00025484
	v_add_u32_e32 v11, v11, v42                                // 000000003380: 6816550B
	s_lshr_b32 s60, s65, 7                                     // 000000003384: 8F3C8741
	s_mul_i32 s60, s60, s61                                    // 000000003388: 923C3D3C
	v_add_u32_e64 v13, v11, s60                                // 00000000338C: D134000D 0000790B
	s_mov_b32 s4, 8                                            // 000000003394: BE840088
	s_mul_i32 s60, s2, 1                                       // 000000003398: 923C8102
	s_mul_i32 s60, s60, s61                                    // 00000000339C: 923C3D3C
	s_mul_i32 s61, s5, s74                                     // 0000000033A0: 923D4A05
	s_add_u32 s61, s61, s60                                    // 0000000033A4: 803D3C3D
	s_add_u32 s32, s61, s32                                    // 0000000033A8: 8020203D
	s_addc_u32 s33, 0, s33                                     // 0000000033AC: 82212180
	s_lshr_b32 s60, s65, 7                                     // 0000000033B0: 8F3C8741
	s_mul_i32 s61, s60, 4                                      // 0000000033B4: 923D843C
	s_mul_i32 s60, s2, 1                                       // 0000000033B8: 923C8102
	s_mul_i32 s60, s60, 4                                      // 0000000033BC: 923C843C
	v_and_b32_e64 v6, v0, 1                                    // 0000000033C0: D1130006 00010300
	v_mul_lo_u32 v6, v6, s61                                   // 0000000033C8: D2850006 00007B06
	v_and_b32_e64 v42, v0, 1                                   // 0000000033D0: D113002A 00010300
	v_lshrrev_b32_e32 v42, 1, v42                              // 0000000033D8: 20545481
	v_mul_lo_u32 v42, 4, v42                                   // 0000000033DC: D285002A 00025484
	v_add_i32 v6, v6, v42                                      // 0000000033E4: D29C0006 00025506
	v_add_i32 v6, v6, s60                                      // 0000000033EC: D29C0006 00007906
	s_mul_i32 s60, s5, s75                                     // 0000000033F4: 923C4B05
	s_add_u32 s16, s60, s16                                    // 0000000033F8: 8010103C
	s_addc_u32 s17, 0, s17                                     // 0000000033FC: 82111180
	s_mov_b32 s57, 0x200                                       // 000000003400: BEB900FF 00000200
	s_mov_b32 s58, 0x1000                                      // 000000003408: BEBA00FF 00001000
	s_mul_i32 s79, 2, s61                                      // 000000003410: 924F3D82
	s_mov_b32 s59, 0                                           // 000000003414: BEBB0080
	s_mov_b32 s90, s58                                         // 000000003418: BEDA003A
	s_mov_b32 s53, 0x7060302                                   // 00000000341C: BEB500FF 07060302
	s_mov_b32 s54, 0x400                                       // 000000003424: BEB600FF 00000400
	s_mov_b32 s55, 0x40100                                     // 00000000342C: BEB700FF 00040100
	s_mov_b32 s63, 0x4020100                                   // 000000003434: BEBF00FF 04020100
	s_mov_b32 s6, 0x3fb8aa3b                                   // 00000000343C: BE8600FF 3FB8AA3B
	s_mov_b32 s77, 0xbd92220c                                  // 000000003444: BECD00FF BD92220C
	s_mov_b32 m0, s50                                          // 00000000344C: BEFC0032
	v_mov_b32_e32 v1, 0xbfcc4231                               // 000000003450: 7E0202FF BFCC4231
	v_mov_b32_e32 v39, 0xffff0000                              // 000000003458: 7E4E02FF FFFF0000
	v_mov_b32_e32 v40, 0x7fff0000                              // 000000003460: 7E5002FF 7FFF0000
	v_mov_b32_e32 v41, 0x7fff                                  // 000000003468: 7E5202FF 00007FFF
	s_waitcnt vmcnt(0) expcnt(0) lgkmcnt(0)                    // 000000003470: BF8C0000
	v_and_b32_e32 v7, 0xffffff, v7                             // 000000003474: 260E0EFF 00FFFFFF
	v_and_b32_e32 v8, 0xffffff, v8                             // 00000000347C: 261010FF 00FFFFFF
	v_lshlrev_b32_e32 v7, 2, v7                                // 000000003484: 240E0E82
	v_lshlrev_b32_e32 v8, 2, v8                                // 000000003488: 24101082
	v_lshlrev_b32_e32 v3, 2, v0                                // 00000000348C: 24060082
	buffer_load_dword v23, v9, s[40:43], 0 offen               // 000000003490: E0501000 800A1709
	buffer_load_dword v24, v10, s[40:43], 0 offen              // 000000003498: E0501000 800A180A
	buffer_load_dwordx4 v[112:115], v30, s[20:23], 0 offen     // 0000000034A0: E05C1000 8005701E
	buffer_load_dwordx4 v[116:119], v30, s[20:23], 0 offen offset:16// 0000000034A8: E05C1010 8005741E
	s_add_u32 s20, s57, s20                                    // 0000000034B0: 80141439
	s_addc_u32 s21, 0, s21                                     // 0000000034B4: 82151580
	buffer_load_dword v19, v11, s[32:35], 0 offen              // 0000000034B8: E0501000 8008130B
	buffer_load_dword v21, v13, s[32:35], 0 offen              // 0000000034C0: E0501000 8008150D
	s_add_u32 s60, 0x100, s80                                  // 0000000034C8: 803C50FF 00000100
	s_cmp_lt_u32 s60, s81                                      // 0000000034D0: BF0A513C
	s_cselect_b32 s4, s4, 0                                    // 0000000034D4: 85048004
	s_add_u32 s32, s4, s32                                     // 0000000034D8: 80202004
	s_addc_u32 s33, 0, s33                                     // 0000000034DC: 82212180
	buffer_load_dwordx4 a[0:3], v32, s[24:27], 0 offen         // 0000000034E0: E05C1000 80860020
	buffer_load_dwordx4 a[4:7], v32, s[24:27], 0 offen offset:1024// 0000000034E8: E05C1400 80860420
	buffer_load_dwordx4 a[8:11], v33, s[24:27], 0 offen        // 0000000034F0: E05C1000 80860821
	buffer_load_dwordx4 a[12:15], v33, s[24:27], 0 offen offset:1024// 0000000034F8: E05C1400 80860C21
	buffer_load_dwordx4 a[16:19], v32, s[24:27], 0 offen offset:2048// 000000003500: E05C1800 80861020
	buffer_load_dwordx4 a[20:23], v32, s[24:27], 0 offen offset:3072// 000000003508: E05C1C00 80861420
	buffer_load_dwordx4 a[24:27], v33, s[24:27], 0 offen offset:2048// 000000003510: E05C1800 80861821
	buffer_load_dwordx4 a[28:31], v33, s[24:27], 0 offen offset:3072// 000000003518: E05C1C00 80861C21
	buffer_load_dwordx4 a[32:35], v32, s[92:95], 0 offen       // 000000003520: E05C1000 80972020
	buffer_load_dwordx4 a[36:39], v32, s[92:95], 0 offen offset:1024// 000000003528: E05C1400 80972420
	buffer_load_dwordx4 a[40:43], v33, s[92:95], 0 offen       // 000000003530: E05C1000 80972821
	buffer_load_dwordx4 a[44:47], v33, s[92:95], 0 offen offset:1024// 000000003538: E05C1400 80972C21
	buffer_load_dwordx4 a[48:51], v32, s[92:95], 0 offen offset:2048// 000000003540: E05C1800 80973020
	buffer_load_dwordx4 a[52:55], v32, s[92:95], 0 offen offset:3072// 000000003548: E05C1C00 80973420
	buffer_load_dwordx4 a[56:59], v33, s[92:95], 0 offen offset:2048// 000000003550: E05C1800 80973821
	buffer_load_dwordx4 a[60:63], v33, s[92:95], 0 offen offset:3072// 000000003558: E05C1C00 80973C21
	s_add_u32 s24, s58, s24                                    // 000000003560: 8018183A
	s_addc_u32 s25, 0, s25                                     // 000000003564: 82191980
	s_add_u32 s92, s90, s92                                    // 000000003568: 805C5C5A
	s_addc_u32 s93, 0, s93                                     // 00000000356C: 825D5D80
	v_mov_b32_e32 v96, 0                                       // 000000003570: 7EC00280
	v_mov_b32_e32 v64, 0                                       // 000000003574: 7E800280
	v_mov_b32_e32 v97, 0                                       // 000000003578: 7EC20280
	v_mov_b32_e32 v65, 0                                       // 00000000357C: 7E820280
	v_mov_b32_e32 v98, 0                                       // 000000003580: 7EC40280
	v_mov_b32_e32 v66, 0                                       // 000000003584: 7E840280
	v_mov_b32_e32 v99, 0                                       // 000000003588: 7EC60280
	v_mov_b32_e32 v67, 0                                       // 00000000358C: 7E860280
	v_mov_b32_e32 v100, 0                                      // 000000003590: 7EC80280
	v_mov_b32_e32 v68, 0                                       // 000000003594: 7E880280
	v_mov_b32_e32 v101, 0                                      // 000000003598: 7ECA0280
	v_mov_b32_e32 v69, 0                                       // 00000000359C: 7E8A0280
	v_mov_b32_e32 v102, 0                                      // 0000000035A0: 7ECC0280
	v_mov_b32_e32 v70, 0                                       // 0000000035A4: 7E8C0280
	v_mov_b32_e32 v103, 0                                      // 0000000035A8: 7ECE0280
	v_mov_b32_e32 v71, 0                                       // 0000000035AC: 7E8E0280
	v_mov_b32_e32 v104, 0                                      // 0000000035B0: 7ED00280
	v_mov_b32_e32 v72, 0                                       // 0000000035B4: 7E900280
	v_mov_b32_e32 v105, 0                                      // 0000000035B8: 7ED20280
	v_mov_b32_e32 v73, 0                                       // 0000000035BC: 7E920280
	v_mov_b32_e32 v106, 0                                      // 0000000035C0: 7ED40280
	v_mov_b32_e32 v74, 0                                       // 0000000035C4: 7E940280
	v_mov_b32_e32 v107, 0                                      // 0000000035C8: 7ED60280
	v_mov_b32_e32 v75, 0                                       // 0000000035CC: 7E960280
	v_mov_b32_e32 v108, 0                                      // 0000000035D0: 7ED80280
	v_mov_b32_e32 v76, 0                                       // 0000000035D4: 7E980280
	v_mov_b32_e32 v109, 0                                      // 0000000035D8: 7EDA0280
	v_mov_b32_e32 v77, 0                                       // 0000000035DC: 7E9A0280
	v_mov_b32_e32 v110, 0                                      // 0000000035E0: 7EDC0280
	v_mov_b32_e32 v78, 0                                       // 0000000035E4: 7E9C0280
	v_mov_b32_e32 v111, 0                                      // 0000000035E8: 7EDE0280
	v_mov_b32_e32 v79, 0                                       // 0000000035EC: 7E9E0280
	v_lshrrev_b32_e32 v42, 4, v0                               // 0000000035F0: 20540084
	v_mul_lo_u32 v4, 34, v42                                   // 0000000035F4: D2850004 000254A2
	v_and_b32_e32 v42, 15, v0                                  // 0000000035FC: 2654008F
	v_mul_lo_u32 v43, 2, v42                                   // 000000003600: D285002B 00025482
	v_add_u32_e32 v4, v43, v4                                  // 000000003608: 6808092B
	s_mul_i32 s60, s7, 0x88                                    // 00000000360C: 923CFF07 00000088
	v_add_u32_e32 v4, s60, v4                                  // 000000003614: 6808083C
	v_lshlrev_b32_e32 v4, 2, v4                                // 000000003618: 24080882
	v_lshrrev_b32_e32 v42, 1, v0                               // 00000000361C: 20540081
	v_mul_lo_u32 v5, 34, v42                                   // 000000003620: D2850005 000254A2
	v_and_b32_e32 v43, 1, v0                                   // 000000003628: 26560081
	v_add_u32_e32 v5, v43, v5                                  // 00000000362C: 680A0B2B
	s_mov_b32 s60, 0                                           // 000000003630: BEBC0080
	s_lshr_b32 s61, s7, 1                                      // 000000003634: 8F3D8107
	s_mul_i32 s61, s61, 8                                      // 000000003638: 923D883D
	s_add_u32 s60, s61, s60                                    // 00000000363C: 803C3C3D
	s_and_b32 s61, s7, 1                                       // 000000003640: 863D8107
	s_mul_i32 s61, s61, 2                                      // 000000003644: 923D823D
	s_add_u32 s60, s61, s60                                    // 000000003648: 803C3C3D
	s_mul_i32 s60, 2, s60                                      // 00000000364C: 923C3C82
	v_add_u32_e32 v5, s60, v5                                  // 000000003650: 680A0A3C
	v_lshlrev_b32_e32 v5, 2, v5                                // 000000003654: 240A0A82
	s_waitcnt vmcnt(16)                                        // 000000003658: BF8C4F70
	v_mov_b32_e32 v26, 0                                       // 00000000365C: 7E340280
	v_lshlrev_b32_e32 v42, 16, v112                            // 000000003660: 2454E090
	v_and_b32_e32 v43, 0xffff0000, v112                        // 000000003664: 2656E0FF FFFF0000
	v_max3_f32 v26, |v43|, |v42|, v26                          // 00000000366C: D1D3031A 046A552B
	v_lshlrev_b32_e32 v42, 16, v113                            // 000000003674: 2454E290
	v_and_b32_e32 v43, 0xffff0000, v113                        // 000000003678: 2656E2FF FFFF0000
	v_max3_f32 v26, |v43|, |v42|, v26                          // 000000003680: D1D3031A 046A552B
	v_lshlrev_b32_e32 v42, 16, v114                            // 000000003688: 2454E490
	v_and_b32_e32 v43, 0xffff0000, v114                        // 00000000368C: 2656E4FF FFFF0000
	v_max3_f32 v26, |v43|, |v42|, v26                          // 000000003694: D1D3031A 046A552B
	v_lshlrev_b32_e32 v42, 16, v115                            // 00000000369C: 2454E690
	v_and_b32_e32 v43, 0xffff0000, v115                        // 0000000036A0: 2656E6FF FFFF0000
	v_max3_f32 v26, |v43|, |v42|, v26                          // 0000000036A8: D1D3031A 046A552B
	v_lshlrev_b32_e32 v42, 16, v116                            // 0000000036B0: 2454E890
	v_and_b32_e32 v43, 0xffff0000, v116                        // 0000000036B4: 2656E8FF FFFF0000
	v_max3_f32 v26, |v43|, |v42|, v26                          // 0000000036BC: D1D3031A 046A552B
	v_lshlrev_b32_e32 v42, 16, v117                            // 0000000036C4: 2454EA90
	v_and_b32_e32 v43, 0xffff0000, v117                        // 0000000036C8: 2656EAFF FFFF0000
	v_max3_f32 v26, |v43|, |v42|, v26                          // 0000000036D0: D1D3031A 046A552B
	v_lshlrev_b32_e32 v42, 16, v118                            // 0000000036D8: 2454EC90
	v_and_b32_e32 v43, 0xffff0000, v118                        // 0000000036DC: 2656ECFF FFFF0000
	v_max3_f32 v26, |v43|, |v42|, v26                          // 0000000036E4: D1D3031A 046A552B
	v_lshlrev_b32_e32 v42, 16, v119                            // 0000000036EC: 2454EE90
	v_and_b32_e32 v43, 0xffff0000, v119                        // 0000000036F0: 2656EEFF FFFF0000
	v_max3_f32 v26, |v43|, |v42|, v26                          // 0000000036F8: D1D3031A 046A552B
	s_barrier                                                  // 000000003700: BF8A0000
	v_max_f32_dpp v27, v26, v26 quad_perm:[1,2,3,0] row_mask:0xf bank_mask:0xf// 000000003704: 163634FA FF00391A
	s_nop 1                                                    // 00000000370C: BF800001
	v_max_f32_dpp v42, v27, v27 quad_perm:[2,3,0,1] row_mask:0xf bank_mask:0xf// 000000003710: 165436FA FF004E1B
	s_nop 1                                                    // 000000003718: BF800001
	v_max_f32_dpp v26, v42, v42 row_half_mirror row_mask:0xf bank_mask:0xf// 00000000371C: 163454FA FF01412A
	v_rcp_f32_e32 v42, v26                                     // 000000003724: 7E54451A
	v_mov_b32_e32 v43, 0x43e00000                              // 000000003728: 7E5602FF 43E00000
	v_mul_f32_e32 v27, v43, v42                                // 000000003730: 0A36552B
	v_mov_b32_e32 v26, v27                                     // 000000003734: 7E34031B
	v_lshlrev_b32_e32 v42, 16, v112                            // 000000003738: 2454E090
	v_and_b32_e32 v43, 0xffff0000, v112                        // 00000000373C: 2656E0FF FFFF0000
	v_pk_mul_f32 v[42:43], v[42:43], v[26:27]                  // 000000003744: D3B1402A 1802352A
	v_cvt_pk_fp8_f32 v112, v42, v43                            // 00000000374C: D2A20070 0002572A
	v_lshlrev_b32_e32 v42, 16, v113                            // 000000003754: 2454E290
	v_and_b32_e32 v43, 0xffff0000, v113                        // 000000003758: 2656E2FF FFFF0000
	v_pk_mul_f32 v[42:43], v[42:43], v[26:27]                  // 000000003760: D3B1402A 1802352A
	v_cvt_pk_fp8_f32 v112, v42, v43 op_sel:[0,0,1]             // 000000003768: D2A24070 0002572A
	v_lshlrev_b32_e32 v42, 16, v114                            // 000000003770: 2454E490
	v_and_b32_e32 v43, 0xffff0000, v114                        // 000000003774: 2656E4FF FFFF0000
	v_pk_mul_f32 v[42:43], v[42:43], v[26:27]                  // 00000000377C: D3B1402A 1802352A
	v_cvt_pk_fp8_f32 v113, v42, v43                            // 000000003784: D2A20071 0002572A
	v_lshlrev_b32_e32 v42, 16, v115                            // 00000000378C: 2454E690
	v_and_b32_e32 v43, 0xffff0000, v115                        // 000000003790: 2656E6FF FFFF0000
	v_pk_mul_f32 v[42:43], v[42:43], v[26:27]                  // 000000003798: D3B1402A 1802352A
	v_cvt_pk_fp8_f32 v113, v42, v43 op_sel:[0,0,1]             // 0000000037A0: D2A24071 0002572A
	v_lshlrev_b32_e32 v42, 16, v116                            // 0000000037A8: 2454E890
	v_and_b32_e32 v43, 0xffff0000, v116                        // 0000000037AC: 2656E8FF FFFF0000
	v_pk_mul_f32 v[42:43], v[42:43], v[26:27]                  // 0000000037B4: D3B1402A 1802352A
	v_cvt_pk_fp8_f32 v114, v42, v43                            // 0000000037BC: D2A20072 0002572A
	v_lshlrev_b32_e32 v42, 16, v117                            // 0000000037C4: 2454EA90
	v_and_b32_e32 v43, 0xffff0000, v117                        // 0000000037C8: 2656EAFF FFFF0000
	v_pk_mul_f32 v[42:43], v[42:43], v[26:27]                  // 0000000037D0: D3B1402A 1802352A
	v_cvt_pk_fp8_f32 v114, v42, v43 op_sel:[0,0,1]             // 0000000037D8: D2A24072 0002572A
	v_lshlrev_b32_e32 v42, 16, v118                            // 0000000037E0: 2454EC90
	v_and_b32_e32 v43, 0xffff0000, v118                        // 0000000037E4: 2656ECFF FFFF0000
	v_pk_mul_f32 v[42:43], v[42:43], v[26:27]                  // 0000000037EC: D3B1402A 1802352A
	v_cvt_pk_fp8_f32 v115, v42, v43                            // 0000000037F4: D2A20073 0002572A
	v_lshlrev_b32_e32 v42, 16, v119                            // 0000000037FC: 2454EE90
	v_and_b32_e32 v43, 0xffff0000, v119                        // 000000003800: 2656EEFF FFFF0000
	v_pk_mul_f32 v[42:43], v[42:43], v[26:27]                  // 000000003808: D3B1402A 1802352A
	v_cvt_pk_fp8_f32 v115, v42, v43 op_sel:[0,0,1]             // 000000003810: D2A24073 0002572A
	v_lshlrev_b32_e32 v42, 4, v0                               // 000000003818: 24540084
	v_add_u32_e64 v42, v42, s50                                // 00000000381C: D134002A 0000652A
	ds_write_b128 v42, v[112:115]                              // 000000003824: D9BE0000 0000702A
	v_rcp_f32_e32 v28, v27                                     // 00000000382C: 7E38451B
	v_add_u32_e32 v42, 0, v29                                  // 000000003830: 68543A80
	s_mov_b64 s[60:61], exec                                   // 000000003834: BEBC017E
	s_mov_b32 s62, 0xf0f0f0f                                   // 000000003838: BEBE00FF 0F0F0F0F
	s_mov_b32 s63, 0xf0f0f0f                                   // 000000003840: BEBF00FF 0F0F0F0F
	s_mov_b64 exec, s[62:63]                                   // 000000003848: BEFE013E
	ds_write_b32 v42, v28 offset:4352                          // 00000000384C: D81A1100 00001C2A
	s_mov_b64 exec, s[60:61]                                   // 000000003854: BEFE013C
	s_waitcnt lgkmcnt(0)                                       // 000000003858: BF8CC07F
	s_barrier                                                  // 00000000385C: BF8A0000
	ds_read_b128 v[112:115], v2                                // 000000003860: D9FE0000 70000002
	ds_read_b128 v[116:119], v2 offset:64                      // 000000003868: D9FE0040 74000002
	ds_read_b128 v[120:123], v2 offset:512                     // 000000003870: D9FE0200 78000002
	ds_read_b128 v[124:127], v2 offset:576                     // 000000003878: D9FE0240 7C000002
	ds_read_b32 v15, v3 offset:4352                            // 000000003880: D86C1100 0F000003
	ds_read_b32 v16, v3 offset:4608                            // 000000003888: D86C1200 10000003
	ds_read_b32 v17, v3 offset:4864                            // 000000003890: D86C1300 11000003
	ds_read_b32 v18, v3 offset:5120                            // 000000003898: D86C1400 12000003
	s_cmp_lt_i32 s7, 2                                         // 0000000038A0: BF048207
	s_cbranch_scc0 label_09F5                                  // 0000000038A4: BF84074B

00000000000038a8 <label_02AA>:
	s_waitcnt vmcnt(14) lgkmcnt(0)                             // 0000000038A8: BF8C007E
	s_barrier                                                  // 0000000038AC: BF8A0000
	v_mfma_f32_16x16x128_f8f6f4 v[104:107], a[0:7], v[112:119], 0// 0000000038B0: D3AD0068 0A02E100
	s_waitcnt vmcnt(6)                                         // 0000000038B8: BF8C0F76
	v_mfma_f32_16x16x128_f8f6f4 v[108:111], a[8:15], v[112:119], 0// 0000000038BC: D3AD006C 0A02E108
	buffer_load_dwordx4 v[128:131], v30, s[20:23], 0 offen     // 0000000038C4: E05C1000 8005801E
	buffer_load_dwordx4 v[132:135], v30, s[20:23], 0 offen offset:16// 0000000038CC: E05C1010 8005841E
	buffer_load_dword v20, v11, s[32:35], 0 offen              // 0000000038D4: E0501000 8008140B
	buffer_load_dword v22, v13, s[32:35], 0 offen              // 0000000038DC: E0501000 8008160D
	buffer_load_dwordx4 a[64:67], v32, s[24:27], 0 offen       // 0000000038E4: E05C1000 80864020
	buffer_load_dwordx4 a[68:71], v32, s[24:27], 0 offen offset:1024// 0000000038EC: E05C1400 80864420
	buffer_load_dwordx4 a[72:75], v33, s[24:27], 0 offen       // 0000000038F4: E05C1000 80864821
	buffer_load_dwordx4 a[76:79], v33, s[24:27], 0 offen offset:1024// 0000000038FC: E05C1400 80864C21
	v_mul_f32_dpp v42, v19, v15 row_newbcast:0 row_mask:0xf bank_mask:0xf// 000000003904: 0A541EFA FF015013
	v_mov_b32_e32 v43, v42                                     // 00000000390C: 7E56032A
	v_pk_fma_f32 v[96:97], v[104:105], v[42:43], v[96:97]      // 000000003910: D3B04060 1D825568
	v_pk_fma_f32 v[98:99], v[106:107], v[42:43], v[98:99]      // 000000003918: D3B04062 1D8A556A
	v_pk_fma_f32 v[100:101], v[108:109], v[42:43], v[100:101]  // 000000003920: D3B04064 1D92556C
	v_pk_fma_f32 v[102:103], v[110:111], v[42:43], v[102:103]  // 000000003928: D3B04066 1D9A556E
	s_waitcnt vmcnt(12)                                        // 000000003930: BF8C0F7C
	v_mfma_f32_16x16x128_f8f6f4 v[104:107], a[16:23], v[120:127], 0// 000000003934: D3AD0068 0A02F110
	s_waitcnt vmcnt(10)                                        // 00000000393C: BF8C0F7A
	v_mfma_f32_16x16x128_f8f6f4 v[108:111], a[24:31], v[120:127], 0// 000000003940: D3AD006C 0A02F118
	buffer_load_dwordx4 a[80:83], v32, s[24:27], 0 offen offset:2048// 000000003948: E05C1800 80865020
	buffer_load_dwordx4 a[84:87], v32, s[24:27], 0 offen offset:3072// 000000003950: E05C1C00 80865420
	buffer_load_dwordx4 a[88:91], v33, s[24:27], 0 offen offset:2048// 000000003958: E05C1800 80865821
	buffer_load_dwordx4 a[92:95], v33, s[24:27], 0 offen offset:3072// 000000003960: E05C1C00 80865C21
	v_mul_f32_dpp v42, v19, v16 row_newbcast:2 row_mask:0xf bank_mask:0xf// 000000003968: 0A5420FA FF015213
	v_mov_b32_e32 v43, v42                                     // 000000003970: 7E56032A
	v_pk_fma_f32 v[96:97], v[104:105], v[42:43], v[96:97]      // 000000003974: D3B04060 1D825568
	v_pk_fma_f32 v[98:99], v[106:107], v[42:43], v[98:99]      // 00000000397C: D3B04062 1D8A556A
	v_pk_fma_f32 v[100:101], v[108:109], v[42:43], v[100:101]  // 000000003984: D3B04064 1D92556C
	v_pk_fma_f32 v[102:103], v[110:111], v[42:43], v[102:103]  // 00000000398C: D3B04066 1D9A556E
	s_add_u32 s60, 0x200, s80                                  // 000000003994: 803C50FF 00000200
	s_cmp_lt_u32 s60, s81                                      // 00000000399C: BF0A513C
	s_cselect_b32 s4, s4, 0                                    // 0000000039A0: 85048004
	s_add_u32 s32, s4, s32                                     // 0000000039A4: 80202004
	s_addc_u32 s33, 0, s33                                     // 0000000039A8: 82212180
	s_waitcnt vmcnt(0)                                         // 0000000039AC: BF8C0F70
	s_barrier                                                  // 0000000039B0: BF8A0000
	v_mfma_f32_16x16x128_f8f6f4 v[104:107], a[32:39], v[112:119], 0// 0000000039B4: D3AD0068 0A02E120
	s_waitcnt vmcnt(0)                                         // 0000000039BC: BF8C0F70
	v_mfma_f32_16x16x128_f8f6f4 v[108:111], a[40:47], v[112:119], 0// 0000000039C0: D3AD006C 0A02E128
	buffer_load_dwordx4 a[96:99], v32, s[92:95], 0 offen       // 0000000039C8: E05C1000 80976020
	buffer_load_dwordx4 a[100:103], v32, s[92:95], 0 offen offset:1024// 0000000039D0: E05C1400 80976420
	buffer_load_dwordx4 a[104:107], v33, s[92:95], 0 offen     // 0000000039D8: E05C1000 80976821
	buffer_load_dwordx4 a[108:111], v33, s[92:95], 0 offen offset:1024// 0000000039E0: E05C1400 80976C21
	s_waitcnt vmcnt(4)                                         // 0000000039E8: BF8C0F74
	v_mov_b32_e32 v26, 0                                       // 0000000039EC: 7E340280
	v_lshlrev_b32_e32 v42, 16, v128                            // 0000000039F0: 24550090
	v_and_b32_e32 v43, 0xffff0000, v128                        // 0000000039F4: 265700FF FFFF0000
	v_max3_f32 v26, |v43|, |v42|, v26                          // 0000000039FC: D1D3031A 046A552B
	v_lshlrev_b32_e32 v42, 16, v129                            // 000000003A04: 24550290
	v_and_b32_e32 v43, 0xffff0000, v129                        // 000000003A08: 265702FF FFFF0000
	v_max3_f32 v26, |v43|, |v42|, v26                          // 000000003A10: D1D3031A 046A552B
	v_lshlrev_b32_e32 v42, 16, v130                            // 000000003A18: 24550490
	v_and_b32_e32 v43, 0xffff0000, v130                        // 000000003A1C: 265704FF FFFF0000
	v_max3_f32 v26, |v43|, |v42|, v26                          // 000000003A24: D1D3031A 046A552B
	v_lshlrev_b32_e32 v42, 16, v131                            // 000000003A2C: 24550690
	v_and_b32_e32 v43, 0xffff0000, v131                        // 000000003A30: 265706FF FFFF0000
	v_max3_f32 v26, |v43|, |v42|, v26                          // 000000003A38: D1D3031A 046A552B
	v_lshlrev_b32_e32 v42, 16, v132                            // 000000003A40: 24550890
	v_and_b32_e32 v43, 0xffff0000, v132                        // 000000003A44: 265708FF FFFF0000
	v_max3_f32 v26, |v43|, |v42|, v26                          // 000000003A4C: D1D3031A 046A552B
	v_lshlrev_b32_e32 v42, 16, v133                            // 000000003A54: 24550A90
	v_and_b32_e32 v43, 0xffff0000, v133                        // 000000003A58: 26570AFF FFFF0000
	v_max3_f32 v26, |v43|, |v42|, v26                          // 000000003A60: D1D3031A 046A552B
	v_lshlrev_b32_e32 v42, 16, v134                            // 000000003A68: 24550C90
	v_and_b32_e32 v43, 0xffff0000, v134                        // 000000003A6C: 26570CFF FFFF0000
	v_max3_f32 v26, |v43|, |v42|, v26                          // 000000003A74: D1D3031A 046A552B
	v_lshlrev_b32_e32 v42, 16, v135                            // 000000003A7C: 24550E90
	v_and_b32_e32 v43, 0xffff0000, v135                        // 000000003A80: 26570EFF FFFF0000
	v_max3_f32 v26, |v43|, |v42|, v26                          // 000000003A88: D1D3031A 046A552B
	s_barrier                                                  // 000000003A90: BF8A0000
	v_max_f32_dpp v27, v26, v26 quad_perm:[1,2,3,0] row_mask:0xf bank_mask:0xf// 000000003A94: 163634FA FF00391A
	s_nop 1                                                    // 000000003A9C: BF800001
	v_max_f32_dpp v42, v27, v27 quad_perm:[2,3,0,1] row_mask:0xf bank_mask:0xf// 000000003AA0: 165436FA FF004E1B
	s_nop 1                                                    // 000000003AA8: BF800001
	v_max_f32_dpp v26, v42, v42 row_half_mirror row_mask:0xf bank_mask:0xf// 000000003AAC: 163454FA FF01412A
	v_rcp_f32_e32 v42, v26                                     // 000000003AB4: 7E54451A
	v_mov_b32_e32 v43, 0x43e00000                              // 000000003AB8: 7E5602FF 43E00000
	v_mul_f32_e32 v27, v43, v42                                // 000000003AC0: 0A36552B
	v_mov_b32_e32 v26, v27                                     // 000000003AC4: 7E34031B
	v_lshlrev_b32_e32 v42, 16, v128                            // 000000003AC8: 24550090
	v_and_b32_e32 v43, 0xffff0000, v128                        // 000000003ACC: 265700FF FFFF0000
	v_pk_mul_f32 v[42:43], v[42:43], v[26:27]                  // 000000003AD4: D3B1402A 1802352A
	v_cvt_pk_fp8_f32 v128, v42, v43                            // 000000003ADC: D2A20080 0002572A
	v_lshlrev_b32_e32 v42, 16, v129                            // 000000003AE4: 24550290
	v_and_b32_e32 v43, 0xffff0000, v129                        // 000000003AE8: 265702FF FFFF0000
	v_pk_mul_f32 v[42:43], v[42:43], v[26:27]                  // 000000003AF0: D3B1402A 1802352A
	v_cvt_pk_fp8_f32 v128, v42, v43 op_sel:[0,0,1]             // 000000003AF8: D2A24080 0002572A
	v_lshlrev_b32_e32 v42, 16, v130                            // 000000003B00: 24550490
	v_and_b32_e32 v43, 0xffff0000, v130                        // 000000003B04: 265704FF FFFF0000
	v_pk_mul_f32 v[42:43], v[42:43], v[26:27]                  // 000000003B0C: D3B1402A 1802352A
	v_cvt_pk_fp8_f32 v129, v42, v43                            // 000000003B14: D2A20081 0002572A
	v_lshlrev_b32_e32 v42, 16, v131                            // 000000003B1C: 24550690
	v_and_b32_e32 v43, 0xffff0000, v131                        // 000000003B20: 265706FF FFFF0000
	v_pk_mul_f32 v[42:43], v[42:43], v[26:27]                  // 000000003B28: D3B1402A 1802352A
	v_cvt_pk_fp8_f32 v129, v42, v43 op_sel:[0,0,1]             // 000000003B30: D2A24081 0002572A
	v_lshlrev_b32_e32 v42, 16, v132                            // 000000003B38: 24550890
	v_and_b32_e32 v43, 0xffff0000, v132                        // 000000003B3C: 265708FF FFFF0000
	v_pk_mul_f32 v[42:43], v[42:43], v[26:27]                  // 000000003B44: D3B1402A 1802352A
	v_cvt_pk_fp8_f32 v130, v42, v43                            // 000000003B4C: D2A20082 0002572A
	v_lshlrev_b32_e32 v42, 16, v133                            // 000000003B54: 24550A90
	v_and_b32_e32 v43, 0xffff0000, v133                        // 000000003B58: 26570AFF FFFF0000
	v_pk_mul_f32 v[42:43], v[42:43], v[26:27]                  // 000000003B60: D3B1402A 1802352A
	v_cvt_pk_fp8_f32 v130, v42, v43 op_sel:[0,0,1]             // 000000003B68: D2A24082 0002572A
	v_lshlrev_b32_e32 v42, 16, v134                            // 000000003B70: 24550C90
	v_and_b32_e32 v43, 0xffff0000, v134                        // 000000003B74: 26570CFF FFFF0000
	v_pk_mul_f32 v[42:43], v[42:43], v[26:27]                  // 000000003B7C: D3B1402A 1802352A
	v_cvt_pk_fp8_f32 v131, v42, v43                            // 000000003B84: D2A20083 0002572A
	v_lshlrev_b32_e32 v42, 16, v135                            // 000000003B8C: 24550E90
	v_and_b32_e32 v43, 0xffff0000, v135                        // 000000003B90: 26570EFF FFFF0000
	v_pk_mul_f32 v[42:43], v[42:43], v[26:27]                  // 000000003B98: D3B1402A 1802352A
	v_cvt_pk_fp8_f32 v131, v42, v43 op_sel:[0,0,1]             // 000000003BA0: D2A24083 0002572A
	v_lshlrev_b32_e32 v42, 4, v0                               // 000000003BA8: 24540084
	v_add_u32_e64 v42, v42, s51                                // 000000003BAC: D134002A 0000672A
	ds_write_b128 v42, v[128:131]                              // 000000003BB4: D9BE0000 0000802A
	v_rcp_f32_e32 v28, v27                                     // 000000003BBC: 7E38451B
	v_add_u32_e32 v42, 0, v29                                  // 000000003BC0: 68543A80
	s_mov_b64 s[60:61], exec                                   // 000000003BC4: BEBC017E
	s_mov_b32 s62, 0xf0f0f0f                                   // 000000003BC8: BEBE00FF 0F0F0F0F
	s_mov_b32 s63, 0xf0f0f0f                                   // 000000003BD0: BEBF00FF 0F0F0F0F
	s_mov_b64 exec, s[62:63]                                   // 000000003BD8: BEFE013E
	ds_write_b32 v42, v28 offset:9728                          // 000000003BDC: D81A2600 00001C2A
	s_mov_b64 exec, s[60:61]                                   // 000000003BE4: BEFE013C
	v_mul_f32_dpp v42, v21, v15 row_newbcast:0 row_mask:0xf bank_mask:0xf// 000000003BE8: 0A541EFA FF015015
	v_mov_b32_e32 v43, v42                                     // 000000003BF0: 7E56032A
	v_pk_fma_f32 v[64:65], v[104:105], v[42:43], v[64:65]      // 000000003BF4: D3B04040 1D025568
	v_pk_fma_f32 v[66:67], v[106:107], v[42:43], v[66:67]      // 000000003BFC: D3B04042 1D0A556A
	v_pk_fma_f32 v[68:69], v[108:109], v[42:43], v[68:69]      // 000000003C04: D3B04044 1D12556C
	v_pk_fma_f32 v[70:71], v[110:111], v[42:43], v[70:71]      // 000000003C0C: D3B04046 1D1A556E
	s_waitcnt vmcnt(2)                                         // 000000003C14: BF8C0F72
	v_mfma_f32_16x16x128_f8f6f4 v[104:107], a[48:55], v[120:127], 0// 000000003C18: D3AD0068 0A02F130
	s_waitcnt lgkmcnt(0)                                       // 000000003C20: BF8CC07F
	s_barrier                                                  // 000000003C24: BF8A0000
	ds_read_b128 v[128:131], v2 offset:5376                    // 000000003C28: D9FE1500 80000002
	ds_read_b128 v[132:135], v2 offset:5440                    // 000000003C30: D9FE1540 84000002
	ds_read_b128 v[136:139], v2 offset:5888                    // 000000003C38: D9FE1700 88000002
	ds_read_b128 v[140:143], v2 offset:5952                    // 000000003C40: D9FE1740 8C000002
	ds_read_b32 v17, v3 offset:9728                            // 000000003C48: D86C2600 11000003
	ds_read_b32 v18, v3 offset:9984                            // 000000003C50: D86C2700 12000003
	s_waitcnt vmcnt(0)                                         // 000000003C58: BF8C0F70
	v_mfma_f32_16x16x128_f8f6f4 v[108:111], a[56:63], v[120:127], 0// 000000003C5C: D3AD006C 0A02F138
	buffer_load_dwordx4 a[112:115], v32, s[92:95], 0 offen offset:2048// 000000003C64: E05C1800 80977020
	buffer_load_dwordx4 a[116:119], v32, s[92:95], 0 offen offset:3072// 000000003C6C: E05C1C00 80977420
	buffer_load_dwordx4 a[120:123], v33, s[92:95], 0 offen offset:2048// 000000003C74: E05C1800 80977821
	buffer_load_dwordx4 a[124:127], v33, s[92:95], 0 offen offset:3072// 000000003C7C: E05C1C00 80977C21
	v_mul_f32_dpp v42, v21, v16 row_newbcast:2 row_mask:0xf bank_mask:0xf// 000000003C84: 0A5420FA FF015215
	v_mov_b32_e32 v43, v42                                     // 000000003C8C: 7E56032A
	v_pk_fma_f32 v[64:65], v[104:105], v[42:43], v[64:65]      // 000000003C90: D3B04040 1D025568
	v_pk_fma_f32 v[66:67], v[106:107], v[42:43], v[66:67]      // 000000003C98: D3B04042 1D0A556A
	v_pk_fma_f32 v[68:69], v[108:109], v[42:43], v[68:69]      // 000000003CA0: D3B04044 1D12556C
	v_pk_fma_f32 v[70:71], v[110:111], v[42:43], v[70:71]      // 000000003CA8: D3B04046 1D1A556E
	s_add_u32 s60, 0x200, s80                                  // 000000003CB0: 803C50FF 00000200
	s_cmp_lt_u32 s60, s81                                      // 000000003CB8: BF0A513C
	s_cselect_b32 s57, s57, 0                                  // 000000003CBC: 85398039
	s_add_u32 s60, 0x200, s80                                  // 000000003CC0: 803C50FF 00000200
	s_cmp_lt_u32 s60, s81                                      // 000000003CC8: BF0A513C
	s_cselect_b32 s58, s58, 0                                  // 000000003CCC: 853A803A
	s_cselect_b32 s90, s90, 0                                  // 000000003CD0: 855A805A
	s_add_u32 s20, s57, s20                                    // 000000003CD4: 80141439
	s_addc_u32 s21, 0, s21                                     // 000000003CD8: 82151580
	s_add_u32 s24, s58, s24                                    // 000000003CDC: 8018183A
	s_addc_u32 s25, 0, s25                                     // 000000003CE0: 82191980
	s_add_u32 s92, s90, s92                                    // 000000003CE4: 805C5C5A
	s_addc_u32 s93, 0, s93                                     // 000000003CE8: 825D5D80
	s_addk_i32 s80, 0x100                                      // 000000003CEC: B7500100
	s_cmp_lt_i32 s80, s81                                      // 000000003CF0: BF045150
	s_cbranch_scc0 label_04D3                                  // 000000003CF4: BF840115
	s_waitcnt vmcnt(14) lgkmcnt(0)                             // 000000003CF8: BF8C007E
	s_barrier                                                  // 000000003CFC: BF8A0000
	v_mfma_f32_16x16x128_f8f6f4 v[104:107], a[64:71], v[128:135], 0// 000000003D00: D3AD0068 0A030140
	s_waitcnt vmcnt(6)                                         // 000000003D08: BF8C0F76
	v_mfma_f32_16x16x128_f8f6f4 v[108:111], a[72:79], v[128:135], 0// 000000003D0C: D3AD006C 0A030148
	buffer_load_dwordx4 v[112:115], v30, s[20:23], 0 offen     // 000000003D14: E05C1000 8005701E
	buffer_load_dwordx4 v[116:119], v30, s[20:23], 0 offen offset:16// 000000003D1C: E05C1010 8005741E
	buffer_load_dword v19, v11, s[32:35], 0 offen              // 000000003D24: E0501000 8008130B
	buffer_load_dword v21, v13, s[32:35], 0 offen              // 000000003D2C: E0501000 8008150D
	buffer_load_dwordx4 a[0:3], v32, s[24:27], 0 offen         // 000000003D34: E05C1000 80860020
	buffer_load_dwordx4 a[4:7], v32, s[24:27], 0 offen offset:1024// 000000003D3C: E05C1400 80860420
	buffer_load_dwordx4 a[8:11], v33, s[24:27], 0 offen        // 000000003D44: E05C1000 80860821
	buffer_load_dwordx4 a[12:15], v33, s[24:27], 0 offen offset:1024// 000000003D4C: E05C1400 80860C21
	v_mul_f32_dpp v42, v20, v17 row_newbcast:0 row_mask:0xf bank_mask:0xf// 000000003D54: 0A5422FA FF015014
	v_mov_b32_e32 v43, v42                                     // 000000003D5C: 7E56032A
	v_pk_fma_f32 v[96:97], v[104:105], v[42:43], v[96:97]      // 000000003D60: D3B04060 1D825568
	v_pk_fma_f32 v[98:99], v[106:107], v[42:43], v[98:99]      // 000000003D68: D3B04062 1D8A556A
	v_pk_fma_f32 v[100:101], v[108:109], v[42:43], v[100:101]  // 000000003D70: D3B04064 1D92556C
	v_pk_fma_f32 v[102:103], v[110:111], v[42:43], v[102:103]  // 000000003D78: D3B04066 1D9A556E
	s_waitcnt vmcnt(12)                                        // 000000003D80: BF8C0F7C
	v_mfma_f32_16x16x128_f8f6f4 v[104:107], a[80:87], v[136:143], 0// 000000003D84: D3AD0068 0A031150
	s_waitcnt vmcnt(10)                                        // 000000003D8C: BF8C0F7A
	v_mfma_f32_16x16x128_f8f6f4 v[108:111], a[88:95], v[136:143], 0// 000000003D90: D3AD006C 0A031158
	buffer_load_dwordx4 a[16:19], v32, s[24:27], 0 offen offset:2048// 000000003D98: E05C1800 80861020
	buffer_load_dwordx4 a[20:23], v32, s[24:27], 0 offen offset:3072// 000000003DA0: E05C1C00 80861420
	buffer_load_dwordx4 a[24:27], v33, s[24:27], 0 offen offset:2048// 000000003DA8: E05C1800 80861821
	buffer_load_dwordx4 a[28:31], v33, s[24:27], 0 offen offset:3072// 000000003DB0: E05C1C00 80861C21
	v_mul_f32_dpp v42, v20, v18 row_newbcast:2 row_mask:0xf bank_mask:0xf// 000000003DB8: 0A5424FA FF015214
	v_mov_b32_e32 v43, v42                                     // 000000003DC0: 7E56032A
	v_pk_fma_f32 v[96:97], v[104:105], v[42:43], v[96:97]      // 000000003DC4: D3B04060 1D825568
	v_pk_fma_f32 v[98:99], v[106:107], v[42:43], v[98:99]      // 000000003DCC: D3B04062 1D8A556A
	v_pk_fma_f32 v[100:101], v[108:109], v[42:43], v[100:101]  // 000000003DD4: D3B04064 1D92556C
	v_pk_fma_f32 v[102:103], v[110:111], v[42:43], v[102:103]  // 000000003DDC: D3B04066 1D9A556E
	s_add_u32 s60, 0x200, s80                                  // 000000003DE4: 803C50FF 00000200
	s_cmp_lt_u32 s60, s81                                      // 000000003DEC: BF0A513C
	s_cselect_b32 s4, s4, 0                                    // 000000003DF0: 85048004
	s_add_u32 s32, s4, s32                                     // 000000003DF4: 80202004
	s_addc_u32 s33, 0, s33                                     // 000000003DF8: 82212180
	s_waitcnt vmcnt(0)                                         // 000000003DFC: BF8C0F70
	s_barrier                                                  // 000000003E00: BF8A0000
	v_mfma_f32_16x16x128_f8f6f4 v[104:107], a[96:103], v[128:135], 0// 000000003E04: D3AD0068 0A030160
	s_waitcnt vmcnt(0)                                         // 000000003E0C: BF8C0F70
	v_mfma_f32_16x16x128_f8f6f4 v[108:111], a[104:111], v[128:135], 0// 000000003E10: D3AD006C 0A030168
	buffer_load_dwordx4 a[32:35], v32, s[92:95], 0 offen       // 000000003E18: E05C1000 80972020
	buffer_load_dwordx4 a[36:39], v32, s[92:95], 0 offen offset:1024// 000000003E20: E05C1400 80972420
	buffer_load_dwordx4 a[40:43], v33, s[92:95], 0 offen       // 000000003E28: E05C1000 80972821
	buffer_load_dwordx4 a[44:47], v33, s[92:95], 0 offen offset:1024// 000000003E30: E05C1400 80972C21
	s_waitcnt vmcnt(4)                                         // 000000003E38: BF8C0F74
	v_mov_b32_e32 v26, 0                                       // 000000003E3C: 7E340280
	v_lshlrev_b32_e32 v42, 16, v112                            // 000000003E40: 2454E090
	v_and_b32_e32 v43, 0xffff0000, v112                        // 000000003E44: 2656E0FF FFFF0000
	v_max3_f32 v26, |v43|, |v42|, v26                          // 000000003E4C: D1D3031A 046A552B
	v_lshlrev_b32_e32 v42, 16, v113                            // 000000003E54: 2454E290
	v_and_b32_e32 v43, 0xffff0000, v113                        // 000000003E58: 2656E2FF FFFF0000
	v_max3_f32 v26, |v43|, |v42|, v26                          // 000000003E60: D1D3031A 046A552B
	v_lshlrev_b32_e32 v42, 16, v114                            // 000000003E68: 2454E490
	v_and_b32_e32 v43, 0xffff0000, v114                        // 000000003E6C: 2656E4FF FFFF0000
	v_max3_f32 v26, |v43|, |v42|, v26                          // 000000003E74: D1D3031A 046A552B
	v_lshlrev_b32_e32 v42, 16, v115                            // 000000003E7C: 2454E690
	v_and_b32_e32 v43, 0xffff0000, v115                        // 000000003E80: 2656E6FF FFFF0000
	v_max3_f32 v26, |v43|, |v42|, v26                          // 000000003E88: D1D3031A 046A552B
	v_lshlrev_b32_e32 v42, 16, v116                            // 000000003E90: 2454E890
	v_and_b32_e32 v43, 0xffff0000, v116                        // 000000003E94: 2656E8FF FFFF0000
	v_max3_f32 v26, |v43|, |v42|, v26                          // 000000003E9C: D1D3031A 046A552B
	v_lshlrev_b32_e32 v42, 16, v117                            // 000000003EA4: 2454EA90
	v_and_b32_e32 v43, 0xffff0000, v117                        // 000000003EA8: 2656EAFF FFFF0000
	v_max3_f32 v26, |v43|, |v42|, v26                          // 000000003EB0: D1D3031A 046A552B
	v_lshlrev_b32_e32 v42, 16, v118                            // 000000003EB8: 2454EC90
	v_and_b32_e32 v43, 0xffff0000, v118                        // 000000003EBC: 2656ECFF FFFF0000
	v_max3_f32 v26, |v43|, |v42|, v26                          // 000000003EC4: D1D3031A 046A552B
	v_lshlrev_b32_e32 v42, 16, v119                            // 000000003ECC: 2454EE90
	v_and_b32_e32 v43, 0xffff0000, v119                        // 000000003ED0: 2656EEFF FFFF0000
	v_max3_f32 v26, |v43|, |v42|, v26                          // 000000003ED8: D1D3031A 046A552B
	s_barrier                                                  // 000000003EE0: BF8A0000
	v_max_f32_dpp v27, v26, v26 quad_perm:[1,2,3,0] row_mask:0xf bank_mask:0xf// 000000003EE4: 163634FA FF00391A
	s_nop 1                                                    // 000000003EEC: BF800001
	v_max_f32_dpp v42, v27, v27 quad_perm:[2,3,0,1] row_mask:0xf bank_mask:0xf// 000000003EF0: 165436FA FF004E1B
	s_nop 1                                                    // 000000003EF8: BF800001
	v_max_f32_dpp v26, v42, v42 row_half_mirror row_mask:0xf bank_mask:0xf// 000000003EFC: 163454FA FF01412A
	v_rcp_f32_e32 v42, v26                                     // 000000003F04: 7E54451A
	v_mov_b32_e32 v43, 0x43e00000                              // 000000003F08: 7E5602FF 43E00000
	v_mul_f32_e32 v27, v43, v42                                // 000000003F10: 0A36552B
	v_mov_b32_e32 v26, v27                                     // 000000003F14: 7E34031B
	v_lshlrev_b32_e32 v42, 16, v112                            // 000000003F18: 2454E090
	v_and_b32_e32 v43, 0xffff0000, v112                        // 000000003F1C: 2656E0FF FFFF0000
	v_pk_mul_f32 v[42:43], v[42:43], v[26:27]                  // 000000003F24: D3B1402A 1802352A
	v_cvt_pk_fp8_f32 v112, v42, v43                            // 000000003F2C: D2A20070 0002572A
	v_lshlrev_b32_e32 v42, 16, v113                            // 000000003F34: 2454E290
	v_and_b32_e32 v43, 0xffff0000, v113                        // 000000003F38: 2656E2FF FFFF0000
	v_pk_mul_f32 v[42:43], v[42:43], v[26:27]                  // 000000003F40: D3B1402A 1802352A
	v_cvt_pk_fp8_f32 v112, v42, v43 op_sel:[0,0,1]             // 000000003F48: D2A24070 0002572A
	v_lshlrev_b32_e32 v42, 16, v114                            // 000000003F50: 2454E490
	v_and_b32_e32 v43, 0xffff0000, v114                        // 000000003F54: 2656E4FF FFFF0000
	v_pk_mul_f32 v[42:43], v[42:43], v[26:27]                  // 000000003F5C: D3B1402A 1802352A
	v_cvt_pk_fp8_f32 v113, v42, v43                            // 000000003F64: D2A20071 0002572A
	v_lshlrev_b32_e32 v42, 16, v115                            // 000000003F6C: 2454E690
	v_and_b32_e32 v43, 0xffff0000, v115                        // 000000003F70: 2656E6FF FFFF0000
	v_pk_mul_f32 v[42:43], v[42:43], v[26:27]                  // 000000003F78: D3B1402A 1802352A
	v_cvt_pk_fp8_f32 v113, v42, v43 op_sel:[0,0,1]             // 000000003F80: D2A24071 0002572A
	v_lshlrev_b32_e32 v42, 16, v116                            // 000000003F88: 2454E890
	v_and_b32_e32 v43, 0xffff0000, v116                        // 000000003F8C: 2656E8FF FFFF0000
	v_pk_mul_f32 v[42:43], v[42:43], v[26:27]                  // 000000003F94: D3B1402A 1802352A
	v_cvt_pk_fp8_f32 v114, v42, v43                            // 000000003F9C: D2A20072 0002572A
	v_lshlrev_b32_e32 v42, 16, v117                            // 000000003FA4: 2454EA90
	v_and_b32_e32 v43, 0xffff0000, v117                        // 000000003FA8: 2656EAFF FFFF0000
	v_pk_mul_f32 v[42:43], v[42:43], v[26:27]                  // 000000003FB0: D3B1402A 1802352A
	v_cvt_pk_fp8_f32 v114, v42, v43 op_sel:[0,0,1]             // 000000003FB8: D2A24072 0002572A
	v_lshlrev_b32_e32 v42, 16, v118                            // 000000003FC0: 2454EC90
	v_and_b32_e32 v43, 0xffff0000, v118                        // 000000003FC4: 2656ECFF FFFF0000
	v_pk_mul_f32 v[42:43], v[42:43], v[26:27]                  // 000000003FCC: D3B1402A 1802352A
	v_cvt_pk_fp8_f32 v115, v42, v43                            // 000000003FD4: D2A20073 0002572A
	v_lshlrev_b32_e32 v42, 16, v119                            // 000000003FDC: 2454EE90
	v_and_b32_e32 v43, 0xffff0000, v119                        // 000000003FE0: 2656EEFF FFFF0000
	v_pk_mul_f32 v[42:43], v[42:43], v[26:27]                  // 000000003FE8: D3B1402A 1802352A
	v_cvt_pk_fp8_f32 v115, v42, v43 op_sel:[0,0,1]             // 000000003FF0: D2A24073 0002572A
	v_lshlrev_b32_e32 v42, 4, v0                               // 000000003FF8: 24540084
	v_add_u32_e64 v42, v42, s50                                // 000000003FFC: D134002A 0000652A
	ds_write_b128 v42, v[112:115]                              // 000000004004: D9BE0000 0000702A
	v_rcp_f32_e32 v28, v27                                     // 00000000400C: 7E38451B
	v_add_u32_e32 v42, 0, v29                                  // 000000004010: 68543A80
	s_mov_b64 s[60:61], exec                                   // 000000004014: BEBC017E
	s_mov_b32 s62, 0xf0f0f0f                                   // 000000004018: BEBE00FF 0F0F0F0F
	s_mov_b32 s63, 0xf0f0f0f                                   // 000000004020: BEBF00FF 0F0F0F0F
	s_mov_b64 exec, s[62:63]                                   // 000000004028: BEFE013E
	ds_write_b32 v42, v28 offset:4352                          // 00000000402C: D81A1100 00001C2A
	s_mov_b64 exec, s[60:61]                                   // 000000004034: BEFE013C
	v_mul_f32_dpp v42, v22, v17 row_newbcast:0 row_mask:0xf bank_mask:0xf// 000000004038: 0A5422FA FF015016
	v_mov_b32_e32 v43, v42                                     // 000000004040: 7E56032A
	v_pk_fma_f32 v[64:65], v[104:105], v[42:43], v[64:65]      // 000000004044: D3B04040 1D025568
	v_pk_fma_f32 v[66:67], v[106:107], v[42:43], v[66:67]      // 00000000404C: D3B04042 1D0A556A
	v_pk_fma_f32 v[68:69], v[108:109], v[42:43], v[68:69]      // 000000004054: D3B04044 1D12556C
	v_pk_fma_f32 v[70:71], v[110:111], v[42:43], v[70:71]      // 00000000405C: D3B04046 1D1A556E
	s_waitcnt vmcnt(2)                                         // 000000004064: BF8C0F72
	v_mfma_f32_16x16x128_f8f6f4 v[104:107], a[112:119], v[136:143], 0// 000000004068: D3AD0068 0A031170
	s_waitcnt lgkmcnt(0)                                       // 000000004070: BF8CC07F
	s_barrier                                                  // 000000004074: BF8A0000
	ds_read_b128 v[112:115], v2                                // 000000004078: D9FE0000 70000002
	ds_read_b128 v[116:119], v2 offset:64                      // 000000004080: D9FE0040 74000002
	ds_read_b128 v[120:123], v2 offset:512                     // 000000004088: D9FE0200 78000002
	ds_read_b128 v[124:127], v2 offset:576                     // 000000004090: D9FE0240 7C000002
	ds_read_b32 v15, v3 offset:4352                            // 000000004098: D86C1100 0F000003
	ds_read_b32 v16, v3 offset:4608                            // 0000000040A0: D86C1200 10000003
	s_waitcnt vmcnt(0)                                         // 0000000040A8: BF8C0F70
	v_mfma_f32_16x16x128_f8f6f4 v[108:111], a[120:127], v[136:143], 0// 0000000040AC: D3AD006C 0A031178
	buffer_load_dwordx4 a[48:51], v32, s[92:95], 0 offen offset:2048// 0000000040B4: E05C1800 80973020
	buffer_load_dwordx4 a[52:55], v32, s[92:95], 0 offen offset:3072// 0000000040BC: E05C1C00 80973420
	buffer_load_dwordx4 a[56:59], v33, s[92:95], 0 offen offset:2048// 0000000040C4: E05C1800 80973821
	buffer_load_dwordx4 a[60:63], v33, s[92:95], 0 offen offset:3072// 0000000040CC: E05C1C00 80973C21
	v_mul_f32_dpp v42, v22, v18 row_newbcast:2 row_mask:0xf bank_mask:0xf// 0000000040D4: 0A5424FA FF015216
	v_mov_b32_e32 v43, v42                                     // 0000000040DC: 7E56032A
	v_pk_fma_f32 v[64:65], v[104:105], v[42:43], v[64:65]      // 0000000040E0: D3B04040 1D025568
	v_pk_fma_f32 v[66:67], v[106:107], v[42:43], v[66:67]      // 0000000040E8: D3B04042 1D0A556A
	v_pk_fma_f32 v[68:69], v[108:109], v[42:43], v[68:69]      // 0000000040F0: D3B04044 1D12556C
	v_pk_fma_f32 v[70:71], v[110:111], v[42:43], v[70:71]      // 0000000040F8: D3B04046 1D1A556E
	s_add_u32 s60, 0x200, s80                                  // 000000004100: 803C50FF 00000200
	s_cmp_lt_u32 s60, s81                                      // 000000004108: BF0A513C
	s_cselect_b32 s57, s57, 0                                  // 00000000410C: 85398039
	s_add_u32 s60, 0x200, s80                                  // 000000004110: 803C50FF 00000200
	s_cmp_lt_u32 s60, s81                                      // 000000004118: BF0A513C
	s_cselect_b32 s58, s58, 0                                  // 00000000411C: 853A803A
	s_cselect_b32 s90, s90, 0                                  // 000000004120: 855A805A
	s_add_u32 s20, s57, s20                                    // 000000004124: 80141439
	s_addc_u32 s21, 0, s21                                     // 000000004128: 82151580
	s_add_u32 s24, s58, s24                                    // 00000000412C: 8018183A
	s_addc_u32 s25, 0, s25                                     // 000000004130: 82191980
	s_add_u32 s92, s90, s92                                    // 000000004134: 805C5C5A
	s_addc_u32 s93, 0, s93                                     // 000000004138: 825D5D80
	s_addk_i32 s80, 0x100                                      // 00000000413C: B7500100
	s_cmp_lt_i32 s80, s81                                      // 000000004140: BF045150
	s_cbranch_scc0 label_04D3                                  // 000000004144: BF840001
	s_branch label_02AA                                        // 000000004148: BF82FDD7

000000000000414c <label_04D3>:
	s_mov_b32 s20, 0                                           // 00000000414C: BE940080
	s_cmp_lt_u32 s89, s66                                      // 000000004150: BF0A4259
	s_cselect_b32 s60, 0, 1                                    // 000000004154: 853C8180
	s_lshl1_add_u32 s20, s20, s60                              // 000000004158: 97143C14
	s_cmp_lt_u32 s88, s66                                      // 00000000415C: BF0A4258
	s_cselect_b32 s60, 0, 1                                    // 000000004160: 853C8180
	s_lshl1_add_u32 s20, s20, s60                              // 000000004164: 97143C14
	s_cmp_lt_u32 s87, s66                                      // 000000004168: BF0A4257
	s_cselect_b32 s60, 0, 1                                    // 00000000416C: 853C8180
	s_lshl1_add_u32 s20, s20, s60                              // 000000004170: 97143C14
	s_cmp_lt_u32 s86, s66                                      // 000000004174: BF0A4256
	s_cselect_b32 s60, 0, 1                                    // 000000004178: 853C8180
	s_lshl1_add_u32 s20, s20, s60                              // 00000000417C: 97143C14
	s_cmp_lt_u32 s85, s66                                      // 000000004180: BF0A4255
	s_cselect_b32 s60, 0, 1                                    // 000000004184: 853C8180
	s_lshl1_add_u32 s20, s20, s60                              // 000000004188: 97143C14
	s_cmp_lt_u32 s84, s66                                      // 00000000418C: BF0A4254
	s_cselect_b32 s60, 0, 1                                    // 000000004190: 853C8180
	s_lshl1_add_u32 s20, s20, s60                              // 000000004194: 97143C14
	s_cmp_lt_u32 s83, s66                                      // 000000004198: BF0A4253
	s_cselect_b32 s60, 0, 1                                    // 00000000419C: 853C8180
	s_lshl1_add_u32 s20, s20, s60                              // 0000000041A0: 97143C14
	s_cmp_lt_u32 s82, s66                                      // 0000000041A4: BF0A4252
	s_cselect_b32 s60, 0, 1                                    // 0000000041A8: 853C8180
	s_lshl1_add_u32 s20, s20, s60                              // 0000000041AC: 97143C14
	s_waitcnt vmcnt(4)                                         // 0000000041B0: BF8C0F74
	buffer_load_dword v19, v6, s[16:19], 0 offen               // 0000000041B4: E0501000 80041306
	s_add_u32 s16, s79, s16                                    // 0000000041BC: 8010104F
	s_addc_u32 s17, 0, s17                                     // 0000000041C0: 82111180
	buffer_load_dwordx4 a[0:3], v34, s[12:15], 0 offen         // 0000000041C4: E05C1000 80830022
	buffer_load_dwordx4 a[4:7], v34, s[12:15], 0 offen offset:1024// 0000000041CC: E05C1400 80830422
	buffer_load_dwordx4 a[8:11], v35, s[12:15], 0 offen        // 0000000041D4: E05C1000 80830823
	buffer_load_dwordx4 a[12:15], v35, s[12:15], 0 offen offset:1024// 0000000041DC: E05C1400 80830C23
	v_mul_f32_e32 v42, v96, v96                                // 0000000041E4: 0A54C160
	v_mul_f32_e32 v43, v97, v97                                // 0000000041E8: 0A56C361
	v_mul_f32_e32 v44, v98, v98                                // 0000000041EC: 0A58C562
	v_mul_f32_e32 v45, v99, v99                                // 0000000041F0: 0A5AC763
	v_fma_f32 v42, v42, s77, v1                                // 0000000041F4: D1CB002A 04049B2A
	v_fma_f32 v43, v43, s77, v1                                // 0000000041FC: D1CB002B 04049B2B
	v_fma_f32 v44, v44, s77, v1                                // 000000004204: D1CB002C 04049B2C
	v_fma_f32 v45, v45, s77, v1                                // 00000000420C: D1CB002D 04049B2D
	v_mul_f32_e32 v42, v42, v96                                // 000000004214: 0A54C12A
	v_mul_f32_e32 v43, v43, v97                                // 000000004218: 0A56C32B
	v_mul_f32_e32 v44, v44, v98                                // 00000000421C: 0A58C52C
	v_mul_f32_e32 v45, v45, v99                                // 000000004220: 0A5AC72D
	v_mul_f32_e64 v42, v42, s6                                 // 000000004224: D105002A 00000D2A
	v_mul_f32_e64 v43, v43, s6                                 // 00000000422C: D105002B 00000D2B
	v_mul_f32_e64 v44, v44, s6                                 // 000000004234: D105002C 00000D2C
	v_mul_f32_e64 v45, v45, s6                                 // 00000000423C: D105002D 00000D2D
	v_exp_f32_e32 v42, v42                                     // 000000004244: 7E54412A
	v_exp_f32_e32 v43, v43                                     // 000000004248: 7E56412B
	v_exp_f32_e32 v44, v44                                     // 00000000424C: 7E58412C
	v_exp_f32_e32 v45, v45                                     // 000000004250: 7E5A412D
	buffer_load_dwordx4 a[16:19], v36, s[12:15], 0 offen       // 000000004254: E05C1000 80831024
	buffer_load_dwordx4 a[20:23], v36, s[12:15], 0 offen offset:1024// 00000000425C: E05C1400 80831424
	buffer_load_dwordx4 a[24:27], v37, s[12:15], 0 offen       // 000000004264: E05C1000 80831825
	buffer_load_dwordx4 a[28:31], v37, s[12:15], 0 offen offset:1024// 00000000426C: E05C1400 80831C25
	s_add_u32 s12, s56, s12                                    // 000000004274: 800C0C38
	s_addc_u32 s13, 0, s13                                     // 000000004278: 820D0D80
	v_add_f32_e64 v42, v42, 1.0                                // 00000000427C: D101002A 0001E52A
	v_add_f32_e64 v43, v43, 1.0                                // 000000004284: D101002B 0001E52B
	v_add_f32_e64 v44, v44, 1.0                                // 00000000428C: D101002C 0001E52C
	v_add_f32_e64 v45, v45, 1.0                                // 000000004294: D101002D 0001E52D
	v_rcp_f32_e32 v42, v42                                     // 00000000429C: 7E54452A
	v_rcp_f32_e32 v43, v43                                     // 0000000042A0: 7E56452B
	v_rcp_f32_e32 v44, v44                                     // 0000000042A4: 7E58452C
	v_rcp_f32_e32 v45, v45                                     // 0000000042A8: 7E5A452D
	v_mul_f32_e32 v96, v96, v42                                // 0000000042AC: 0AC05560
	v_mul_f32_e32 v97, v97, v43                                // 0000000042B0: 0AC25761
	v_mul_f32_e32 v98, v98, v44                                // 0000000042B4: 0AC45962
	v_mul_f32_e32 v99, v99, v45                                // 0000000042B8: 0AC65B63
	v_mul_f32_e32 v96, v96, v64                                // 0000000042BC: 0AC08160
	v_mul_f32_e32 v97, v97, v65                                // 0000000042C0: 0AC28361
	v_mul_f32_e32 v98, v98, v66                                // 0000000042C4: 0AC48562
	v_mul_f32_e32 v99, v99, v67                                // 0000000042C8: 0AC68763
	s_waitcnt vmcnt(4)                                         // 0000000042CC: BF8C0F74
	buffer_load_dword v20, v6, s[16:19], 0 offen               // 0000000042D0: E0501000 80041406
	s_add_u32 s16, s79, s16                                    // 0000000042D8: 8010104F
	s_addc_u32 s17, 0, s17                                     // 0000000042DC: 82111180
	buffer_load_dwordx4 a[32:35], v34, s[12:15], 0 offen       // 0000000042E0: E05C1000 80832022
	buffer_load_dwordx4 a[36:39], v34, s[12:15], 0 offen offset:1024// 0000000042E8: E05C1400 80832422
	buffer_load_dwordx4 a[40:43], v35, s[12:15], 0 offen       // 0000000042F0: E05C1000 80832823
	buffer_load_dwordx4 a[44:47], v35, s[12:15], 0 offen offset:1024// 0000000042F8: E05C1400 80832C23
	v_mul_f32_e32 v42, v100, v100                              // 000000004300: 0A54C964
	v_mul_f32_e32 v43, v101, v101                              // 000000004304: 0A56CB65
	v_mul_f32_e32 v44, v102, v102                              // 000000004308: 0A58CD66
	v_mul_f32_e32 v45, v103, v103                              // 00000000430C: 0A5ACF67
	v_fma_f32 v42, v42, s77, v1                                // 000000004310: D1CB002A 04049B2A
	v_fma_f32 v43, v43, s77, v1                                // 000000004318: D1CB002B 04049B2B
	v_fma_f32 v44, v44, s77, v1                                // 000000004320: D1CB002C 04049B2C
	v_fma_f32 v45, v45, s77, v1                                // 000000004328: D1CB002D 04049B2D
	v_mul_f32_e32 v42, v42, v100                               // 000000004330: 0A54C92A
	v_mul_f32_e32 v43, v43, v101                               // 000000004334: 0A56CB2B
	v_mul_f32_e32 v44, v44, v102                               // 000000004338: 0A58CD2C
	v_mul_f32_e32 v45, v45, v103                               // 00000000433C: 0A5ACF2D
	v_mul_f32_e64 v42, v42, s6                                 // 000000004340: D105002A 00000D2A
	v_mul_f32_e64 v43, v43, s6                                 // 000000004348: D105002B 00000D2B
	v_mul_f32_e64 v44, v44, s6                                 // 000000004350: D105002C 00000D2C
	v_mul_f32_e64 v45, v45, s6                                 // 000000004358: D105002D 00000D2D
	v_exp_f32_e32 v42, v42                                     // 000000004360: 7E54412A
	v_exp_f32_e32 v43, v43                                     // 000000004364: 7E56412B
	v_exp_f32_e32 v44, v44                                     // 000000004368: 7E58412C
	v_exp_f32_e32 v45, v45                                     // 00000000436C: 7E5A412D
	buffer_load_dwordx4 a[48:51], v36, s[12:15], 0 offen       // 000000004370: E05C1000 80833024
	buffer_load_dwordx4 a[52:55], v36, s[12:15], 0 offen offset:1024// 000000004378: E05C1400 80833424
	buffer_load_dwordx4 a[56:59], v37, s[12:15], 0 offen       // 000000004380: E05C1000 80833825
	buffer_load_dwordx4 a[60:63], v37, s[12:15], 0 offen offset:1024// 000000004388: E05C1400 80833C25
	s_add_u32 s12, s56, s12                                    // 000000004390: 800C0C38
	s_addc_u32 s13, 0, s13                                     // 000000004394: 820D0D80
	v_add_f32_e64 v42, v42, 1.0                                // 000000004398: D101002A 0001E52A
	v_add_f32_e64 v43, v43, 1.0                                // 0000000043A0: D101002B 0001E52B
	v_add_f32_e64 v44, v44, 1.0                                // 0000000043A8: D101002C 0001E52C
	v_add_f32_e64 v45, v45, 1.0                                // 0000000043B0: D101002D 0001E52D
	v_rcp_f32_e32 v42, v42                                     // 0000000043B8: 7E54452A
	v_rcp_f32_e32 v43, v43                                     // 0000000043BC: 7E56452B
	v_rcp_f32_e32 v44, v44                                     // 0000000043C0: 7E58452C
	v_rcp_f32_e32 v45, v45                                     // 0000000043C4: 7E5A452D
	v_mul_f32_e32 v100, v100, v42                              // 0000000043C8: 0AC85564
	v_mul_f32_e32 v101, v101, v43                              // 0000000043CC: 0ACA5765
	v_mul_f32_e32 v102, v102, v44                              // 0000000043D0: 0ACC5966
	v_mul_f32_e32 v103, v103, v45                              // 0000000043D4: 0ACE5B67
	v_mul_f32_e32 v100, v100, v68                              // 0000000043D8: 0AC88964
	v_mul_f32_e32 v101, v101, v69                              // 0000000043DC: 0ACA8B65
	v_mul_f32_e32 v102, v102, v70                              // 0000000043E0: 0ACC8D66
	v_mul_f32_e32 v103, v103, v71                              // 0000000043E4: 0ACE8F67
	v_lshlrev_b32_e32 v42, 2, v0                               // 0000000043E8: 24540082
	s_mul_i32 s60, s82, s71                                    // 0000000043EC: 923C4752
	v_add_u32_e64 v80, v42, s60                                // 0000000043F0: D1340050 0000792A
	v_mov_b32_e32 v81, 0                                       // 0000000043F8: 7EA20280
	s_mul_i32 s60, s83, s71                                    // 0000000043FC: 923C4753
	v_add_u32_e64 v82, v42, s60                                // 000000004400: D1340052 0000792A
	v_mov_b32_e32 v83, 0                                       // 000000004408: 7EA60280
	s_mul_i32 s60, s84, s71                                    // 00000000440C: 923C4754
	v_add_u32_e64 v84, v42, s60                                // 000000004410: D1340054 0000792A
	v_mov_b32_e32 v85, 0                                       // 000000004418: 7EAA0280
	s_mul_i32 s60, s85, s71                                    // 00000000441C: 923C4755
	v_add_u32_e64 v86, v42, s60                                // 000000004420: D1340056 0000792A
	v_mov_b32_e32 v87, 0                                       // 000000004428: 7EAE0280
	v_mov_b32_e32 v26, 0x358637bd                              // 00000000442C: 7E3402FF 358637BD
	v_max3_f32 v26, |v96|, |v97|, v26                          // 000000004434: D1D3031A 046AC360
	v_max3_f32 v26, |v98|, |v99|, v26                          // 00000000443C: D1D3031A 046AC762
	v_max3_f32 v26, |v100|, |v101|, v26                        // 000000004444: D1D3031A 046ACB64
	v_max3_f32 v26, |v102|, |v103|, v26                        // 00000000444C: D1D3031A 046ACF66
	v_mov_b32_e32 v42, v26                                     // 000000004454: 7E54031A
	s_nop 1                                                    // 000000004458: BF800001
	v_permlane32_swap_b32_e32 v42, v26                         // 00000000445C: 7E54B51A
	v_max_f32_e32 v26, v42, v26                                // 000000004460: 1634352A
	v_mov_b32_e32 v42, v26                                     // 000000004464: 7E54031A
	s_nop 1                                                    // 000000004468: BF800001
	v_permlane16_swap_b32_e32 v42, v26                         // 00000000446C: 7E54B31A
	v_max_f32_e32 v26, v42, v26                                // 000000004470: 1634352A
	v_lshlrev_b32_e32 v42, 2, v0                               // 000000004474: 24540082
	s_mul_i32 s60, 64, s7                                      // 000000004478: 923C07C0
	v_add_u32_e32 v42, s60, v42                                // 00000000447C: 6854543C
	s_mov_b32 s60, 0xffff                                      // 000000004480: BEBC00FF 0000FFFF
	s_mov_b32 s61, 0                                           // 000000004488: BEBD0080
	s_mov_b64 exec, s[60:61]                                   // 00000000448C: BEFE013C
	ds_write_b32 v42, v26 offset:10752                         // 000000004490: D81A2A00 00001A2A
	s_mov_b32 s60, -1                                          // 000000004498: BEBC00C1
	s_mov_b32 s61, -1                                          // 00000000449C: BEBD00C1
	s_mov_b64 exec, s[60:61]                                   // 0000000044A0: BEFE013C
	s_waitcnt lgkmcnt(0)                                       // 0000000044A4: BF8CC07F
	s_barrier                                                  // 0000000044A8: BF8A0000
	v_lshlrev_b32_e32 v42, 2, v0                               // 0000000044AC: 24540082
	ds_read_b32 v104, v42 offset:10752                         // 0000000044B0: D86C2A00 6800002A
	s_waitcnt lgkmcnt(0)                                       // 0000000044B8: BF8CC07F
	v_mov_b32_e32 v42, v104                                    // 0000000044BC: 7E540368
	s_nop 1                                                    // 0000000044C0: BF800001
	v_permlane32_swap_b32_e32 v42, v104                        // 0000000044C4: 7E54B568
	v_max_f32_e32 v104, v42, v104                              // 0000000044C8: 16D0D12A
	v_mov_b32_e32 v42, v104                                    // 0000000044CC: 7E540368
	s_nop 1                                                    // 0000000044D0: BF800001
	v_permlane16_swap_b32_e32 v42, v104                        // 0000000044D4: 7E54B368
	v_max_f32_e32 v104, v42, v104                              // 0000000044D8: 16D0D12A
	v_max_f32_e32 v26, v104, v26                               // 0000000044DC: 16343568
	v_rcp_f32_e32 v26, v26                                     // 0000000044E0: 7E34451A
	v_mov_b32_e32 v42, 0x43e00000                              // 0000000044E4: 7E5402FF 43E00000
	v_mul_f32_e32 v26, v42, v26                                // 0000000044EC: 0A34352A
	v_mul_f32_e32 v96, v26, v96                                // 0000000044F0: 0AC0C11A
	v_mul_f32_e32 v97, v26, v97                                // 0000000044F4: 0AC2C31A
	v_mul_f32_e32 v98, v26, v98                                // 0000000044F8: 0AC4C51A
	v_mul_f32_e32 v99, v26, v99                                // 0000000044FC: 0AC6C71A
	v_cvt_pk_fp8_f32 v96, v96, v97                             // 000000004500: D2A20060 0002C360
	v_cvt_pk_fp8_f32 v96, v98, v99 op_sel:[0,0,1]              // 000000004508: D2A24060 0002C762
	v_mul_f32_e32 v100, v26, v100                              // 000000004510: 0AC8C91A
	v_mul_f32_e32 v101, v26, v101                              // 000000004514: 0ACACB1A
	v_mul_f32_e32 v102, v26, v102                              // 000000004518: 0ACCCD1A
	v_mul_f32_e32 v103, v26, v103                              // 00000000451C: 0ACECF1A
	v_cvt_pk_fp8_f32 v97, v100, v101                           // 000000004520: D2A20061 0002CB64
	v_cvt_pk_fp8_f32 v97, v102, v103 op_sel:[0,0,1]            // 000000004528: D2A24061 0002CF66
	v_rcp_f32_e32 v28, v26                                     // 000000004530: 7E38451A
	v_nop                                                      // 000000004534: 7E000000
	v_lshrrev_b32_e32 v42, 5, v0                               // 000000004538: 20540085
	v_lshlrev_b32_e32 v43, 6, v42                              // 00000000453C: 24565486
	v_and_b32_e32 v42, 31, v0                                  // 000000004540: 2654009F
	v_lshrrev_b32_e32 v44, 4, v42                              // 000000004544: 20585484
	v_add_u32_e32 v43, v44, v43                                // 000000004548: 6856572C
	v_and_b32_e32 v42, 15, v0                                  // 00000000454C: 2654008F
	v_lshlrev_b32_e32 v42, 1, v42                              // 000000004550: 24545481
	v_add_u32_e32 v43, v42, v43                                // 000000004554: 6856572A
	v_lshlrev_b32_e32 v42, 2, v43                              // 000000004558: 24545682
	s_mov_b32 s60, 0                                           // 00000000455C: BEBC0080
	s_lshr_b32 s61, s7, 1                                      // 000000004560: 8F3D8107
	s_mul_i32 s61, s61, 0x200                                  // 000000004564: 923DFF3D 00000200
	s_add_u32 s60, s61, s60                                    // 00000000456C: 803C3C3D
	s_and_b32 s61, s7, 1                                       // 000000004570: 863D8107
	s_mul_i32 s61, s61, 0x80                                   // 000000004574: 923DFF3D 00000080
	s_add_u32 s60, s61, s60                                    // 00000000457C: 803C3C3D
	v_add_u32_e64 v42, v42, s60                                // 000000004580: D134002A 0000792A
	ds_write_b32 v42, v96 offset:11776                         // 000000004588: D81A2E00 0000602A
	ds_write_b32 v42, v97 offset:12800                         // 000000004590: D81A3200 0000612A
	s_waitcnt lgkmcnt(0)                                       // 000000004598: BF8CC07F
	s_barrier                                                  // 00000000459C: BF8A0000
	v_and_b32_e32 v42, 31, v0                                  // 0000000045A0: 2654009F
	v_lshrrev_b32_e32 v42, 4, v42                              // 0000000045A4: 20545484
	v_lshlrev_b32_e32 v43, 5, v42                              // 0000000045A8: 24565485
	v_lshrrev_b32_e32 v42, 5, v0                               // 0000000045AC: 20540085
	v_lshlrev_b32_e32 v42, 7, v42                              // 0000000045B0: 24545487
	v_add_u32_e32 v43, v42, v43                                // 0000000045B4: 6856572A
	v_and_b32_e32 v42, 15, v0                                  // 0000000045B8: 2654008F
	v_lshlrev_b32_e32 v42, 1, v42                              // 0000000045BC: 24545481
	v_add_u32_e32 v43, v42, v43                                // 0000000045C0: 6856572A
	v_lshlrev_b32_e32 v42, 2, v43                              // 0000000045C4: 24545682
	ds_read_b64 v[96:97], v42 offset:11776                     // 0000000045C8: D8EC2E00 6000002A
	ds_read_b64 v[98:99], v42 offset:12032                     // 0000000045D0: D8EC2F00 6200002A
	ds_read_b64 v[100:101], v42 offset:12800                   // 0000000045D8: D8EC3200 6400002A
	ds_read_b64 v[102:103], v42 offset:13056                   // 0000000045E0: D8EC3300 6600002A
	s_waitcnt lgkmcnt(0)                                       // 0000000045E8: BF8CC07F
	s_barrier                                                  // 0000000045EC: BF8A0000
	v_mov_b32_e32 v112, 0                                      // 0000000045F0: 7EE00280
	v_mov_b32_e32 v128, 0                                      // 0000000045F4: 7F000280
	v_mov_b32_e32 v113, 0                                      // 0000000045F8: 7EE20280
	v_mov_b32_e32 v129, 0                                      // 0000000045FC: 7F020280
	v_mov_b32_e32 v114, 0                                      // 000000004600: 7EE40280
	v_mov_b32_e32 v130, 0                                      // 000000004604: 7F040280
	v_mov_b32_e32 v115, 0                                      // 000000004608: 7EE60280
	v_mov_b32_e32 v131, 0                                      // 00000000460C: 7F060280
	v_mov_b32_e32 v116, 0                                      // 000000004610: 7EE80280
	v_mov_b32_e32 v132, 0                                      // 000000004614: 7F080280
	v_mov_b32_e32 v117, 0                                      // 000000004618: 7EEA0280
	v_mov_b32_e32 v133, 0                                      // 00000000461C: 7F0A0280
	v_mov_b32_e32 v118, 0                                      // 000000004620: 7EEC0280
	v_mov_b32_e32 v134, 0                                      // 000000004624: 7F0C0280
	v_mov_b32_e32 v119, 0                                      // 000000004628: 7EEE0280
	v_mov_b32_e32 v135, 0                                      // 00000000462C: 7F0E0280
	v_mov_b32_e32 v120, 0                                      // 000000004630: 7EF00280
	v_mov_b32_e32 v136, 0                                      // 000000004634: 7F100280
	v_mov_b32_e32 v121, 0                                      // 000000004638: 7EF20280
	v_mov_b32_e32 v137, 0                                      // 00000000463C: 7F120280
	v_mov_b32_e32 v122, 0                                      // 000000004640: 7EF40280
	v_mov_b32_e32 v138, 0                                      // 000000004644: 7F140280
	v_mov_b32_e32 v123, 0                                      // 000000004648: 7EF60280
	v_mov_b32_e32 v139, 0                                      // 00000000464C: 7F160280
	v_mov_b32_e32 v124, 0                                      // 000000004650: 7EF80280
	v_mov_b32_e32 v140, 0                                      // 000000004654: 7F180280
	v_mov_b32_e32 v125, 0                                      // 000000004658: 7EFA0280
	v_mov_b32_e32 v141, 0                                      // 00000000465C: 7F1A0280
	v_mov_b32_e32 v126, 0                                      // 000000004660: 7EFC0280
	v_mov_b32_e32 v142, 0                                      // 000000004664: 7F1C0280
	v_mov_b32_e32 v127, 0                                      // 000000004668: 7EFE0280
	v_mov_b32_e32 v143, 0                                      // 00000000466C: 7F1E0280
	ds_write_b64 v4, v[112:113] offset:11776                   // 000000004670: D89A2E00 00007004
	ds_write_b64 v4, v[114:115] offset:13952                   // 000000004678: D89A3680 00007204
	ds_write_b64 v4, v[116:117] offset:16128                   // 000000004680: D89A3F00 00007404
	ds_write_b64 v4, v[118:119] offset:18304                   // 000000004688: D89A4780 00007604
	s_mov_b32 s80, 0                                           // 000000004690: BED00080

0000000000004694 <label_0625>:
	s_waitcnt vmcnt(13) lgkmcnt(0)                             // 000000004694: BF8C007D
	s_barrier                                                  // 000000004698: BF8A0000
	v_mfma_f32_16x16x128_f8f6f4 v[112:115], a[0:7], v[96:103], 0// 00000000469C: D3AD0070 0A02C100
	ds_read_b32 v64, v5 offset:11776                           // 0000000046A4: D86C2E00 40000005
	ds_read_b32 v65, v5 offset:16128                           // 0000000046AC: D86C3F00 41000005
	ds_read_b32 v66, v5 offset:11784                           // 0000000046B4: D86C2E08 42000005
	ds_read_b32 v67, v5 offset:16136                           // 0000000046BC: D86C3F08 43000005
	ds_read_b32 v68, v5 offset:11808                           // 0000000046C4: D86C2E20 44000005
	ds_read_b32 v69, v5 offset:16160                           // 0000000046CC: D86C3F20 45000005
	ds_read_b32 v70, v5 offset:11816                           // 0000000046D4: D86C2E28 46000005
	ds_read_b32 v71, v5 offset:16168                           // 0000000046DC: D86C3F28 47000005
	v_mfma_f32_16x16x128_f8f6f4 v[116:119], a[8:15], v[96:103], 0// 0000000046E4: D3AD0074 0A02C108
	buffer_load_dword v21, v6, s[16:19], 0 offen               // 0000000046EC: E0501000 80041506
	buffer_load_dwordx4 a[64:67], v34, s[12:15], 0 offen       // 0000000046F4: E05C1000 80834022
	buffer_load_dwordx4 a[68:71], v34, s[12:15], 0 offen offset:1024// 0000000046FC: E05C1400 80834422
	buffer_load_dwordx4 a[72:75], v35, s[12:15], 0 offen       // 000000004704: E05C1000 80834823
	buffer_load_dwordx4 a[76:79], v35, s[12:15], 0 offen offset:1024// 00000000470C: E05C1400 80834C23
	s_waitcnt vmcnt(13)                                        // 000000004714: BF8C0F7D
	v_mfma_f32_16x16x128_f8f6f4 v[120:123], a[16:23], v[96:103], 0// 000000004718: D3AD0078 0A02C110
	ds_write_b64 v4, v[128:129] offset:29184                   // 000000004720: D89A7200 00008004
	ds_write_b64 v4, v[130:131] offset:31360                   // 000000004728: D89A7A80 00008204
	ds_write_b64 v4, v[132:133] offset:33536                   // 000000004730: D89A8300 00008404
	ds_write_b64 v4, v[134:135] offset:35712                   // 000000004738: D89A8B80 00008604
	v_mfma_f32_16x16x128_f8f6f4 v[124:127], a[24:31], v[96:103], 0// 000000004740: D3AD007C 0A02C118
	buffer_load_dwordx4 a[80:83], v36, s[12:15], 0 offen       // 000000004748: E05C1000 80835024
	buffer_load_dwordx4 a[84:87], v36, s[12:15], 0 offen offset:1024// 000000004750: E05C1400 80835424
	buffer_load_dwordx4 a[88:91], v37, s[12:15], 0 offen       // 000000004758: E05C1000 80835825
	buffer_load_dwordx4 a[92:95], v37, s[12:15], 0 offen offset:1024// 000000004760: E05C1400 80835C25
	v_mul_f32_dpp v42, v19, v28 row_newbcast:0 row_mask:0xf bank_mask:0xf// 000000004768: 0A5438FA FF015013
	v_mov_b32_e32 v43, v42                                     // 000000004770: 7E56032A
	v_pk_mul_f32 v[112:113], v[42:43], v[112:113]              // 000000004774: D3B14070 1802E12A
	v_pk_mul_f32 v[114:115], v[42:43], v[114:115]              // 00000000477C: D3B14072 1802E52A
	v_pk_mul_f32 v[116:117], v[42:43], v[116:117]              // 000000004784: D3B14074 1802E92A
	v_pk_mul_f32 v[118:119], v[42:43], v[118:119]              // 00000000478C: D3B14076 1802ED2A
	v_mul_f32_dpp v42, v19, v28 row_newbcast:1 row_mask:0xf bank_mask:0xf// 000000004794: 0A5438FA FF015113
	v_mov_b32_e32 v43, v42                                     // 00000000479C: 7E56032A
	v_pk_mul_f32 v[120:121], v[42:43], v[120:121]              // 0000000047A0: D3B14078 1802F12A
	v_pk_mul_f32 v[122:123], v[42:43], v[122:123]              // 0000000047A8: D3B1407A 1802F52A
	v_pk_mul_f32 v[124:125], v[42:43], v[124:125]              // 0000000047B0: D3B1407C 1802F92A
	v_pk_mul_f32 v[126:127], v[42:43], v[126:127]              // 0000000047B8: D3B1407E 1802FD2A
	s_add_u32 s60, 0x300, s80                                  // 0000000047C0: 803C50FF 00000300
	s_cmp_lt_u32 s60, s81                                      // 0000000047C8: BF0A513C
	s_cselect_b32 s56, s56, 0                                  // 0000000047CC: 85388038
	s_cselect_b32 s78, s78, 0                                  // 0000000047D0: 854E804E
	s_cselect_b32 s79, s79, 0                                  // 0000000047D4: 854F804F
	s_add_u32 s12, s56, s12                                    // 0000000047D8: 800C0C38
	s_addc_u32 s13, 0, s13                                     // 0000000047DC: 820D0D80
	s_add_u32 s16, s79, s16                                    // 0000000047E0: 8010104F
	s_addc_u32 s17, 0, s17                                     // 0000000047E4: 82111180
	v_mov_b32_e32 v42, v23                                     // 0000000047E8: 7E540317
	v_mov_b32_e32 v43, v23                                     // 0000000047EC: 7E560317
	v_pk_mul_f32 v[112:113], v[42:43], v[112:113]              // 0000000047F0: D3B14070 1802E12A
	v_pk_mul_f32 v[114:115], v[42:43], v[114:115]              // 0000000047F8: D3B14072 1802E52A
	v_pk_mul_f32 v[116:117], v[42:43], v[116:117]              // 000000004800: D3B14074 1802E92A
	v_pk_mul_f32 v[118:119], v[42:43], v[118:119]              // 000000004808: D3B14076 1802ED2A
	v_pk_mul_f32 v[120:121], v[42:43], v[120:121]              // 000000004810: D3B14078 1802F12A
	v_pk_mul_f32 v[122:123], v[42:43], v[122:123]              // 000000004818: D3B1407A 1802F52A
	v_pk_mul_f32 v[124:125], v[42:43], v[124:125]              // 000000004820: D3B1407C 1802F92A
	v_pk_mul_f32 v[126:127], v[42:43], v[126:127]              // 000000004828: D3B1407E 1802FD2A
	v_cvt_pk_bf16_f32 v112, v112, v113                         // 000000004830: D2680070 0002E370
	v_cvt_pk_bf16_f32 v113, v114, v115                         // 000000004838: D2680071 0002E772
	v_cvt_pk_bf16_f32 v114, v116, v117                         // 000000004840: D2680072 0002EB74
	v_cvt_pk_bf16_f32 v115, v118, v119                         // 000000004848: D2680073 0002EF76
	v_cvt_pk_bf16_f32 v116, v120, v121                         // 000000004850: D2680074 0002F378
	v_cvt_pk_bf16_f32 v117, v122, v123                         // 000000004858: D2680075 0002F77A
	v_cvt_pk_bf16_f32 v118, v124, v125                         // 000000004860: D2680076 0002FB7C
	v_cvt_pk_bf16_f32 v119, v126, v127                         // 000000004868: D2680077 0002FF7E
	s_cmp_ge_u32 s80, 0x200                                    // 000000004870: BF09FF50 00000200
	s_cselect_b32 s59, 0x200, s59                              // 000000004878: 853B3BFF 00000200
	s_waitcnt lgkmcnt(0)                                       // 000000004880: BF8CC07F
	s_barrier                                                  // 000000004884: BF8A0000
	s_setvskip s20, 0                                          // 000000004888: BF108014
	global_atomic_pk_add_bf16 v80, v64, s[8:9]                 // 00000000488C: DD488000 00084050
	s_setvskip 0, 0                                            // 000000004894: BF108080
	s_setvskip s20, 0                                          // 000000004898: BF108014
	global_atomic_pk_add_bf16 v80, v65, s[8:9] offset:256      // 00000000489C: DD488100 00084150
	s_setvskip 0, 0                                            // 0000000048A4: BF108080
	s_setvskip s20, 1                                          // 0000000048A8: BF108114
	global_atomic_pk_add_bf16 v82, v66, s[8:9]                 // 0000000048AC: DD488000 00084252
	s_setvskip 0, 0                                            // 0000000048B4: BF108080
	s_setvskip s20, 1                                          // 0000000048B8: BF108114
	global_atomic_pk_add_bf16 v82, v67, s[8:9] offset:256      // 0000000048BC: DD488100 00084352
	s_setvskip 0, 0                                            // 0000000048C4: BF108080
	s_setvskip s20, 2                                          // 0000000048C8: BF108214
	global_atomic_pk_add_bf16 v84, v68, s[8:9]                 // 0000000048CC: DD488000 00084454
	s_setvskip 0, 0                                            // 0000000048D4: BF108080
	s_setvskip s20, 2                                          // 0000000048D8: BF108214
	global_atomic_pk_add_bf16 v84, v69, s[8:9] offset:256      // 0000000048DC: DD488100 00084554
	s_setvskip 0, 0                                            // 0000000048E4: BF108080
	s_setvskip s20, 3                                          // 0000000048E8: BF108314
	global_atomic_pk_add_bf16 v86, v70, s[8:9]                 // 0000000048EC: DD488000 00084656
	s_setvskip 0, 0                                            // 0000000048F4: BF108080
	s_setvskip s20, 3                                          // 0000000048F8: BF108314
	global_atomic_pk_add_bf16 v86, v71, s[8:9] offset:256      // 0000000048FC: DD488100 00084756
	s_setvskip 0, 0                                            // 000000004904: BF108080
	s_add_u32 s8, s59, s8                                      // 000000004908: 8008083B
	s_addc_u32 s9, 0, s9                                       // 00000000490C: 82090980
	s_addk_i32 s80, 0x100                                      // 000000004910: B7500100
	s_cmp_lt_i32 s80, s81                                      // 000000004914: BF045150
	s_cbranch_scc0 label_09F2                                  // 000000004918: BF84032B
	s_waitcnt vmcnt(13) lgkmcnt(0)                             // 00000000491C: BF8C007D
	s_barrier                                                  // 000000004920: BF8A0000
	v_mfma_f32_16x16x128_f8f6f4 v[128:131], a[32:39], v[96:103], 0// 000000004924: D3AD0080 0A02C120
	ds_read_b32 v64, v5 offset:29184                           // 00000000492C: D86C7200 40000005
	ds_read_b32 v65, v5 offset:33536                           // 000000004934: D86C8300 41000005
	ds_read_b32 v66, v5 offset:29192                           // 00000000493C: D86C7208 42000005
	ds_read_b32 v67, v5 offset:33544                           // 000000004944: D86C8308 43000005
	ds_read_b32 v68, v5 offset:29216                           // 00000000494C: D86C7220 44000005
	ds_read_b32 v69, v5 offset:33568                           // 000000004954: D86C8320 45000005
	ds_read_b32 v70, v5 offset:29224                           // 00000000495C: D86C7228 46000005
	ds_read_b32 v71, v5 offset:33576                           // 000000004964: D86C8328 47000005
	v_mfma_f32_16x16x128_f8f6f4 v[132:135], a[40:47], v[96:103], 0// 00000000496C: D3AD0084 0A02C128
	buffer_load_dword v19, v6, s[16:19], 0 offen               // 000000004974: E0501000 80041306
	buffer_load_dwordx4 a[0:3], v34, s[12:15], 0 offen         // 00000000497C: E05C1000 80830022
	buffer_load_dwordx4 a[4:7], v34, s[12:15], 0 offen offset:1024// 000000004984: E05C1400 80830422
	buffer_load_dwordx4 a[8:11], v35, s[12:15], 0 offen        // 00000000498C: E05C1000 80830823
	buffer_load_dwordx4 a[12:15], v35, s[12:15], 0 offen offset:1024// 000000004994: E05C1400 80830C23
	s_waitcnt vmcnt(13)                                        // 00000000499C: BF8C0F7D
	v_mfma_f32_16x16x128_f8f6f4 v[136:139], a[48:55], v[96:103], 0// 0000000049A0: D3AD0088 0A02C130
	ds_write_b64 v4, v[112:113] offset:11776                   // 0000000049A8: D89A2E00 00007004
	ds_write_b64 v4, v[114:115] offset:13952                   // 0000000049B0: D89A3680 00007204
	ds_write_b64 v4, v[116:117] offset:16128                   // 0000000049B8: D89A3F00 00007404
	ds_write_b64 v4, v[118:119] offset:18304                   // 0000000049C0: D89A4780 00007604
	v_mfma_f32_16x16x128_f8f6f4 v[140:143], a[56:63], v[96:103], 0// 0000000049C8: D3AD008C 0A02C138
	buffer_load_dwordx4 a[16:19], v36, s[12:15], 0 offen       // 0000000049D0: E05C1000 80831024
	buffer_load_dwordx4 a[20:23], v36, s[12:15], 0 offen offset:1024// 0000000049D8: E05C1400 80831424
	buffer_load_dwordx4 a[24:27], v37, s[12:15], 0 offen       // 0000000049E0: E05C1000 80831825
	buffer_load_dwordx4 a[28:31], v37, s[12:15], 0 offen offset:1024// 0000000049E8: E05C1400 80831C25
	v_mul_f32_dpp v42, v20, v28 row_newbcast:0 row_mask:0xf bank_mask:0xf// 0000000049F0: 0A5438FA FF015014
	v_mov_b32_e32 v43, v42                                     // 0000000049F8: 7E56032A
	v_pk_mul_f32 v[128:129], v[42:43], v[128:129]              // 0000000049FC: D3B14080 1803012A
	v_pk_mul_f32 v[130:131], v[42:43], v[130:131]              // 000000004A04: D3B14082 1803052A
	v_pk_mul_f32 v[132:133], v[42:43], v[132:133]              // 000000004A0C: D3B14084 1803092A
	v_pk_mul_f32 v[134:135], v[42:43], v[134:135]              // 000000004A14: D3B14086 18030D2A
	v_mul_f32_dpp v42, v20, v28 row_newbcast:1 row_mask:0xf bank_mask:0xf// 000000004A1C: 0A5438FA FF015114
	v_mov_b32_e32 v43, v42                                     // 000000004A24: 7E56032A
	v_pk_mul_f32 v[136:137], v[42:43], v[136:137]              // 000000004A28: D3B14088 1803112A
	v_pk_mul_f32 v[138:139], v[42:43], v[138:139]              // 000000004A30: D3B1408A 1803152A
	v_pk_mul_f32 v[140:141], v[42:43], v[140:141]              // 000000004A38: D3B1408C 1803192A
	v_pk_mul_f32 v[142:143], v[42:43], v[142:143]              // 000000004A40: D3B1408E 18031D2A
	s_add_u32 s60, 0x300, s80                                  // 000000004A48: 803C50FF 00000300
	s_cmp_lt_u32 s60, s81                                      // 000000004A50: BF0A513C
	s_cselect_b32 s56, s56, 0                                  // 000000004A54: 85388038
	s_cselect_b32 s78, s78, 0                                  // 000000004A58: 854E804E
	s_cselect_b32 s79, s79, 0                                  // 000000004A5C: 854F804F
	s_add_u32 s12, s56, s12                                    // 000000004A60: 800C0C38
	s_addc_u32 s13, 0, s13                                     // 000000004A64: 820D0D80
	s_add_u32 s16, s79, s16                                    // 000000004A68: 8010104F
	s_addc_u32 s17, 0, s17                                     // 000000004A6C: 82111180
	v_mov_b32_e32 v42, v23                                     // 000000004A70: 7E540317
	v_mov_b32_e32 v43, v23                                     // 000000004A74: 7E560317
	v_pk_mul_f32 v[128:129], v[42:43], v[128:129]              // 000000004A78: D3B14080 1803012A
	v_pk_mul_f32 v[130:131], v[42:43], v[130:131]              // 000000004A80: D3B14082 1803052A
	v_pk_mul_f32 v[132:133], v[42:43], v[132:133]              // 000000004A88: D3B14084 1803092A
	v_pk_mul_f32 v[134:135], v[42:43], v[134:135]              // 000000004A90: D3B14086 18030D2A
	v_pk_mul_f32 v[136:137], v[42:43], v[136:137]              // 000000004A98: D3B14088 1803112A
	v_pk_mul_f32 v[138:139], v[42:43], v[138:139]              // 000000004AA0: D3B1408A 1803152A
	v_pk_mul_f32 v[140:141], v[42:43], v[140:141]              // 000000004AA8: D3B1408C 1803192A
	v_pk_mul_f32 v[142:143], v[42:43], v[142:143]              // 000000004AB0: D3B1408E 18031D2A
	v_cvt_pk_bf16_f32 v128, v128, v129                         // 000000004AB8: D2680080 00030380
	v_cvt_pk_bf16_f32 v129, v130, v131                         // 000000004AC0: D2680081 00030782
	v_cvt_pk_bf16_f32 v130, v132, v133                         // 000000004AC8: D2680082 00030B84
	v_cvt_pk_bf16_f32 v131, v134, v135                         // 000000004AD0: D2680083 00030F86
	v_cvt_pk_bf16_f32 v132, v136, v137                         // 000000004AD8: D2680084 00031388
	v_cvt_pk_bf16_f32 v133, v138, v139                         // 000000004AE0: D2680085 0003178A
	v_cvt_pk_bf16_f32 v134, v140, v141                         // 000000004AE8: D2680086 00031B8C
	v_cvt_pk_bf16_f32 v135, v142, v143                         // 000000004AF0: D2680087 00031F8E
	s_cmp_ge_u32 s80, 0x200                                    // 000000004AF8: BF09FF50 00000200
	s_cselect_b32 s59, 0x200, s59                              // 000000004B00: 853B3BFF 00000200
	s_waitcnt lgkmcnt(0)                                       // 000000004B08: BF8CC07F
	s_barrier                                                  // 000000004B0C: BF8A0000
	s_setvskip s20, 0                                          // 000000004B10: BF108014
	global_atomic_pk_add_bf16 v80, v64, s[8:9]                 // 000000004B14: DD488000 00084050
	s_setvskip 0, 0                                            // 000000004B1C: BF108080
	s_setvskip s20, 0                                          // 000000004B20: BF108014
	global_atomic_pk_add_bf16 v80, v65, s[8:9] offset:256      // 000000004B24: DD488100 00084150
	s_setvskip 0, 0                                            // 000000004B2C: BF108080
	s_setvskip s20, 1                                          // 000000004B30: BF108114
	global_atomic_pk_add_bf16 v82, v66, s[8:9]                 // 000000004B34: DD488000 00084252
	s_setvskip 0, 0                                            // 000000004B3C: BF108080
	s_setvskip s20, 1                                          // 000000004B40: BF108114
	global_atomic_pk_add_bf16 v82, v67, s[8:9] offset:256      // 000000004B44: DD488100 00084352
	s_setvskip 0, 0                                            // 000000004B4C: BF108080
	s_setvskip s20, 2                                          // 000000004B50: BF108214
	global_atomic_pk_add_bf16 v84, v68, s[8:9]                 // 000000004B54: DD488000 00084454
	s_setvskip 0, 0                                            // 000000004B5C: BF108080
	s_setvskip s20, 2                                          // 000000004B60: BF108214
	global_atomic_pk_add_bf16 v84, v69, s[8:9] offset:256      // 000000004B64: DD488100 00084554
	s_setvskip 0, 0                                            // 000000004B6C: BF108080
	s_setvskip s20, 3                                          // 000000004B70: BF108314
	global_atomic_pk_add_bf16 v86, v70, s[8:9]                 // 000000004B74: DD488000 00084656
	s_setvskip 0, 0                                            // 000000004B7C: BF108080
	s_setvskip s20, 3                                          // 000000004B80: BF108314
	global_atomic_pk_add_bf16 v86, v71, s[8:9] offset:256      // 000000004B84: DD488100 00084756
	s_setvskip 0, 0                                            // 000000004B8C: BF108080
	s_add_u32 s8, s59, s8                                      // 000000004B90: 8008083B
	s_addc_u32 s9, 0, s9                                       // 000000004B94: 82090980
	s_addk_i32 s80, 0x100                                      // 000000004B98: B7500100
	s_cmp_lt_i32 s80, s81                                      // 000000004B9C: BF045150
	s_cbranch_scc0 label_09F2                                  // 000000004BA0: BF840289
	s_waitcnt vmcnt(13) lgkmcnt(0)                             // 000000004BA4: BF8C007D
	s_barrier                                                  // 000000004BA8: BF8A0000
	v_mfma_f32_16x16x128_f8f6f4 v[112:115], a[64:71], v[96:103], 0// 000000004BAC: D3AD0070 0A02C140
	ds_read_b32 v64, v5 offset:11776                           // 000000004BB4: D86C2E00 40000005
	ds_read_b32 v65, v5 offset:16128                           // 000000004BBC: D86C3F00 41000005
	ds_read_b32 v66, v5 offset:11784                           // 000000004BC4: D86C2E08 42000005
	ds_read_b32 v67, v5 offset:16136                           // 000000004BCC: D86C3F08 43000005
	ds_read_b32 v68, v5 offset:11808                           // 000000004BD4: D86C2E20 44000005
	ds_read_b32 v69, v5 offset:16160                           // 000000004BDC: D86C3F20 45000005
	ds_read_b32 v70, v5 offset:11816                           // 000000004BE4: D86C2E28 46000005
	ds_read_b32 v71, v5 offset:16168                           // 000000004BEC: D86C3F28 47000005
	v_mfma_f32_16x16x128_f8f6f4 v[116:119], a[72:79], v[96:103], 0// 000000004BF4: D3AD0074 0A02C148
	buffer_load_dword v20, v6, s[16:19], 0 offen               // 000000004BFC: E0501000 80041406
	buffer_load_dwordx4 a[32:35], v34, s[12:15], 0 offen       // 000000004C04: E05C1000 80832022
	buffer_load_dwordx4 a[36:39], v34, s[12:15], 0 offen offset:1024// 000000004C0C: E05C1400 80832422
	buffer_load_dwordx4 a[40:43], v35, s[12:15], 0 offen       // 000000004C14: E05C1000 80832823
	buffer_load_dwordx4 a[44:47], v35, s[12:15], 0 offen offset:1024// 000000004C1C: E05C1400 80832C23
	s_waitcnt vmcnt(13)                                        // 000000004C24: BF8C0F7D
	v_mfma_f32_16x16x128_f8f6f4 v[120:123], a[80:87], v[96:103], 0// 000000004C28: D3AD0078 0A02C150
	ds_write_b64 v4, v[128:129] offset:29184                   // 000000004C30: D89A7200 00008004
	ds_write_b64 v4, v[130:131] offset:31360                   // 000000004C38: D89A7A80 00008204
	ds_write_b64 v4, v[132:133] offset:33536                   // 000000004C40: D89A8300 00008404
	ds_write_b64 v4, v[134:135] offset:35712                   // 000000004C48: D89A8B80 00008604
	v_mfma_f32_16x16x128_f8f6f4 v[124:127], a[88:95], v[96:103], 0// 000000004C50: D3AD007C 0A02C158
	buffer_load_dwordx4 a[48:51], v36, s[12:15], 0 offen       // 000000004C58: E05C1000 80833024
	buffer_load_dwordx4 a[52:55], v36, s[12:15], 0 offen offset:1024// 000000004C60: E05C1400 80833424
	buffer_load_dwordx4 a[56:59], v37, s[12:15], 0 offen       // 000000004C68: E05C1000 80833825
	buffer_load_dwordx4 a[60:63], v37, s[12:15], 0 offen offset:1024// 000000004C70: E05C1400 80833C25
	v_mul_f32_dpp v42, v21, v28 row_newbcast:0 row_mask:0xf bank_mask:0xf// 000000004C78: 0A5438FA FF015015
	v_mov_b32_e32 v43, v42                                     // 000000004C80: 7E56032A
	v_pk_mul_f32 v[112:113], v[42:43], v[112:113]              // 000000004C84: D3B14070 1802E12A
	v_pk_mul_f32 v[114:115], v[42:43], v[114:115]              // 000000004C8C: D3B14072 1802E52A
	v_pk_mul_f32 v[116:117], v[42:43], v[116:117]              // 000000004C94: D3B14074 1802E92A
	v_pk_mul_f32 v[118:119], v[42:43], v[118:119]              // 000000004C9C: D3B14076 1802ED2A
	v_mul_f32_dpp v42, v21, v28 row_newbcast:1 row_mask:0xf bank_mask:0xf// 000000004CA4: 0A5438FA FF015115
	v_mov_b32_e32 v43, v42                                     // 000000004CAC: 7E56032A
	v_pk_mul_f32 v[120:121], v[42:43], v[120:121]              // 000000004CB0: D3B14078 1802F12A
	v_pk_mul_f32 v[122:123], v[42:43], v[122:123]              // 000000004CB8: D3B1407A 1802F52A
	v_pk_mul_f32 v[124:125], v[42:43], v[124:125]              // 000000004CC0: D3B1407C 1802F92A
	v_pk_mul_f32 v[126:127], v[42:43], v[126:127]              // 000000004CC8: D3B1407E 1802FD2A
	s_add_u32 s60, 0x300, s80                                  // 000000004CD0: 803C50FF 00000300
	s_cmp_lt_u32 s60, s81                                      // 000000004CD8: BF0A513C
	s_cselect_b32 s56, s56, 0                                  // 000000004CDC: 85388038
	s_cselect_b32 s78, s78, 0                                  // 000000004CE0: 854E804E
	s_cselect_b32 s79, s79, 0                                  // 000000004CE4: 854F804F
	s_add_u32 s12, s56, s12                                    // 000000004CE8: 800C0C38
	s_addc_u32 s13, 0, s13                                     // 000000004CEC: 820D0D80
	s_add_u32 s16, s79, s16                                    // 000000004CF0: 8010104F
	s_addc_u32 s17, 0, s17                                     // 000000004CF4: 82111180
	v_mov_b32_e32 v42, v23                                     // 000000004CF8: 7E540317
	v_mov_b32_e32 v43, v23                                     // 000000004CFC: 7E560317
	v_pk_mul_f32 v[112:113], v[42:43], v[112:113]              // 000000004D00: D3B14070 1802E12A
	v_pk_mul_f32 v[114:115], v[42:43], v[114:115]              // 000000004D08: D3B14072 1802E52A
	v_pk_mul_f32 v[116:117], v[42:43], v[116:117]              // 000000004D10: D3B14074 1802E92A
	v_pk_mul_f32 v[118:119], v[42:43], v[118:119]              // 000000004D18: D3B14076 1802ED2A
	v_pk_mul_f32 v[120:121], v[42:43], v[120:121]              // 000000004D20: D3B14078 1802F12A
	v_pk_mul_f32 v[122:123], v[42:43], v[122:123]              // 000000004D28: D3B1407A 1802F52A
	v_pk_mul_f32 v[124:125], v[42:43], v[124:125]              // 000000004D30: D3B1407C 1802F92A
	v_pk_mul_f32 v[126:127], v[42:43], v[126:127]              // 000000004D38: D3B1407E 1802FD2A
	v_cvt_pk_bf16_f32 v112, v112, v113                         // 000000004D40: D2680070 0002E370
	v_cvt_pk_bf16_f32 v113, v114, v115                         // 000000004D48: D2680071 0002E772
	v_cvt_pk_bf16_f32 v114, v116, v117                         // 000000004D50: D2680072 0002EB74
	v_cvt_pk_bf16_f32 v115, v118, v119                         // 000000004D58: D2680073 0002EF76
	v_cvt_pk_bf16_f32 v116, v120, v121                         // 000000004D60: D2680074 0002F378
	v_cvt_pk_bf16_f32 v117, v122, v123                         // 000000004D68: D2680075 0002F77A
	v_cvt_pk_bf16_f32 v118, v124, v125                         // 000000004D70: D2680076 0002FB7C
	v_cvt_pk_bf16_f32 v119, v126, v127                         // 000000004D78: D2680077 0002FF7E
	s_cmp_ge_u32 s80, 0x200                                    // 000000004D80: BF09FF50 00000200
	s_cselect_b32 s59, 0x200, s59                              // 000000004D88: 853B3BFF 00000200
	s_waitcnt lgkmcnt(0)                                       // 000000004D90: BF8CC07F
	s_barrier                                                  // 000000004D94: BF8A0000
	s_setvskip s20, 0                                          // 000000004D98: BF108014
	global_atomic_pk_add_bf16 v80, v64, s[8:9]                 // 000000004D9C: DD488000 00084050
	s_setvskip 0, 0                                            // 000000004DA4: BF108080
	s_setvskip s20, 0                                          // 000000004DA8: BF108014
	global_atomic_pk_add_bf16 v80, v65, s[8:9] offset:256      // 000000004DAC: DD488100 00084150
	s_setvskip 0, 0                                            // 000000004DB4: BF108080
	s_setvskip s20, 1                                          // 000000004DB8: BF108114
	global_atomic_pk_add_bf16 v82, v66, s[8:9]                 // 000000004DBC: DD488000 00084252
	s_setvskip 0, 0                                            // 000000004DC4: BF108080
	s_setvskip s20, 1                                          // 000000004DC8: BF108114
	global_atomic_pk_add_bf16 v82, v67, s[8:9] offset:256      // 000000004DCC: DD488100 00084352
	s_setvskip 0, 0                                            // 000000004DD4: BF108080
	s_setvskip s20, 2                                          // 000000004DD8: BF108214
	global_atomic_pk_add_bf16 v84, v68, s[8:9]                 // 000000004DDC: DD488000 00084454
	s_setvskip 0, 0                                            // 000000004DE4: BF108080
	s_setvskip s20, 2                                          // 000000004DE8: BF108214
	global_atomic_pk_add_bf16 v84, v69, s[8:9] offset:256      // 000000004DEC: DD488100 00084554
	s_setvskip 0, 0                                            // 000000004DF4: BF108080
	s_setvskip s20, 3                                          // 000000004DF8: BF108314
	global_atomic_pk_add_bf16 v86, v70, s[8:9]                 // 000000004DFC: DD488000 00084656
	s_setvskip 0, 0                                            // 000000004E04: BF108080
	s_setvskip s20, 3                                          // 000000004E08: BF108314
	global_atomic_pk_add_bf16 v86, v71, s[8:9] offset:256      // 000000004E0C: DD488100 00084756
	s_setvskip 0, 0                                            // 000000004E14: BF108080
	s_add_u32 s8, s59, s8                                      // 000000004E18: 8008083B
	s_addc_u32 s9, 0, s9                                       // 000000004E1C: 82090980
	s_addk_i32 s80, 0x100                                      // 000000004E20: B7500100
	s_cmp_lt_i32 s80, s81                                      // 000000004E24: BF045150
	s_cbranch_scc0 label_09F2                                  // 000000004E28: BF8401E7
	s_waitcnt vmcnt(13) lgkmcnt(0)                             // 000000004E2C: BF8C007D
	s_barrier                                                  // 000000004E30: BF8A0000
	v_mfma_f32_16x16x128_f8f6f4 v[128:131], a[0:7], v[96:103], 0// 000000004E34: D3AD0080 0A02C100
	ds_read_b32 v64, v5 offset:29184                           // 000000004E3C: D86C7200 40000005
	ds_read_b32 v65, v5 offset:33536                           // 000000004E44: D86C8300 41000005
	ds_read_b32 v66, v5 offset:29192                           // 000000004E4C: D86C7208 42000005
	ds_read_b32 v67, v5 offset:33544                           // 000000004E54: D86C8308 43000005
	ds_read_b32 v68, v5 offset:29216                           // 000000004E5C: D86C7220 44000005
	ds_read_b32 v69, v5 offset:33568                           // 000000004E64: D86C8320 45000005
	ds_read_b32 v70, v5 offset:29224                           // 000000004E6C: D86C7228 46000005
	ds_read_b32 v71, v5 offset:33576                           // 000000004E74: D86C8328 47000005
	v_mfma_f32_16x16x128_f8f6f4 v[132:135], a[8:15], v[96:103], 0// 000000004E7C: D3AD0084 0A02C108
	buffer_load_dword v21, v6, s[16:19], 0 offen               // 000000004E84: E0501000 80041506
	buffer_load_dwordx4 a[64:67], v34, s[12:15], 0 offen       // 000000004E8C: E05C1000 80834022
	buffer_load_dwordx4 a[68:71], v34, s[12:15], 0 offen offset:1024// 000000004E94: E05C1400 80834422
	buffer_load_dwordx4 a[72:75], v35, s[12:15], 0 offen       // 000000004E9C: E05C1000 80834823
	buffer_load_dwordx4 a[76:79], v35, s[12:15], 0 offen offset:1024// 000000004EA4: E05C1400 80834C23
	s_waitcnt vmcnt(13)                                        // 000000004EAC: BF8C0F7D
	v_mfma_f32_16x16x128_f8f6f4 v[136:139], a[16:23], v[96:103], 0// 000000004EB0: D3AD0088 0A02C110
	ds_write_b64 v4, v[112:113] offset:11776                   // 000000004EB8: D89A2E00 00007004
	ds_write_b64 v4, v[114:115] offset:13952                   // 000000004EC0: D89A3680 00007204
	ds_write_b64 v4, v[116:117] offset:16128                   // 000000004EC8: D89A3F00 00007404
	ds_write_b64 v4, v[118:119] offset:18304                   // 000000004ED0: D89A4780 00007604
	v_mfma_f32_16x16x128_f8f6f4 v[140:143], a[24:31], v[96:103], 0// 000000004ED8: D3AD008C 0A02C118
	buffer_load_dwordx4 a[80:83], v36, s[12:15], 0 offen       // 000000004EE0: E05C1000 80835024
	buffer_load_dwordx4 a[84:87], v36, s[12:15], 0 offen offset:1024// 000000004EE8: E05C1400 80835424
	buffer_load_dwordx4 a[88:91], v37, s[12:15], 0 offen       // 000000004EF0: E05C1000 80835825
	buffer_load_dwordx4 a[92:95], v37, s[12:15], 0 offen offset:1024// 000000004EF8: E05C1400 80835C25
	v_mul_f32_dpp v42, v19, v28 row_newbcast:0 row_mask:0xf bank_mask:0xf// 000000004F00: 0A5438FA FF015013
	v_mov_b32_e32 v43, v42                                     // 000000004F08: 7E56032A
	v_pk_mul_f32 v[128:129], v[42:43], v[128:129]              // 000000004F0C: D3B14080 1803012A
	v_pk_mul_f32 v[130:131], v[42:43], v[130:131]              // 000000004F14: D3B14082 1803052A
	v_pk_mul_f32 v[132:133], v[42:43], v[132:133]              // 000000004F1C: D3B14084 1803092A
	v_pk_mul_f32 v[134:135], v[42:43], v[134:135]              // 000000004F24: D3B14086 18030D2A
	v_mul_f32_dpp v42, v19, v28 row_newbcast:1 row_mask:0xf bank_mask:0xf// 000000004F2C: 0A5438FA FF015113
	v_mov_b32_e32 v43, v42                                     // 000000004F34: 7E56032A
	v_pk_mul_f32 v[136:137], v[42:43], v[136:137]              // 000000004F38: D3B14088 1803112A
	v_pk_mul_f32 v[138:139], v[42:43], v[138:139]              // 000000004F40: D3B1408A 1803152A
	v_pk_mul_f32 v[140:141], v[42:43], v[140:141]              // 000000004F48: D3B1408C 1803192A
	v_pk_mul_f32 v[142:143], v[42:43], v[142:143]              // 000000004F50: D3B1408E 18031D2A
	s_add_u32 s60, 0x300, s80                                  // 000000004F58: 803C50FF 00000300
	s_cmp_lt_u32 s60, s81                                      // 000000004F60: BF0A513C
	s_cselect_b32 s56, s56, 0                                  // 000000004F64: 85388038
	s_cselect_b32 s78, s78, 0                                  // 000000004F68: 854E804E
	s_cselect_b32 s79, s79, 0                                  // 000000004F6C: 854F804F
	s_add_u32 s12, s56, s12                                    // 000000004F70: 800C0C38
	s_addc_u32 s13, 0, s13                                     // 000000004F74: 820D0D80
	s_add_u32 s16, s79, s16                                    // 000000004F78: 8010104F
	s_addc_u32 s17, 0, s17                                     // 000000004F7C: 82111180
	v_mov_b32_e32 v42, v23                                     // 000000004F80: 7E540317
	v_mov_b32_e32 v43, v23                                     // 000000004F84: 7E560317
	v_pk_mul_f32 v[128:129], v[42:43], v[128:129]              // 000000004F88: D3B14080 1803012A
	v_pk_mul_f32 v[130:131], v[42:43], v[130:131]              // 000000004F90: D3B14082 1803052A
	v_pk_mul_f32 v[132:133], v[42:43], v[132:133]              // 000000004F98: D3B14084 1803092A
	v_pk_mul_f32 v[134:135], v[42:43], v[134:135]              // 000000004FA0: D3B14086 18030D2A
	v_pk_mul_f32 v[136:137], v[42:43], v[136:137]              // 000000004FA8: D3B14088 1803112A
	v_pk_mul_f32 v[138:139], v[42:43], v[138:139]              // 000000004FB0: D3B1408A 1803152A
	v_pk_mul_f32 v[140:141], v[42:43], v[140:141]              // 000000004FB8: D3B1408C 1803192A
	v_pk_mul_f32 v[142:143], v[42:43], v[142:143]              // 000000004FC0: D3B1408E 18031D2A
	v_cvt_pk_bf16_f32 v128, v128, v129                         // 000000004FC8: D2680080 00030380
	v_cvt_pk_bf16_f32 v129, v130, v131                         // 000000004FD0: D2680081 00030782
	v_cvt_pk_bf16_f32 v130, v132, v133                         // 000000004FD8: D2680082 00030B84
	v_cvt_pk_bf16_f32 v131, v134, v135                         // 000000004FE0: D2680083 00030F86
	v_cvt_pk_bf16_f32 v132, v136, v137                         // 000000004FE8: D2680084 00031388
	v_cvt_pk_bf16_f32 v133, v138, v139                         // 000000004FF0: D2680085 0003178A
	v_cvt_pk_bf16_f32 v134, v140, v141                         // 000000004FF8: D2680086 00031B8C
	v_cvt_pk_bf16_f32 v135, v142, v143                         // 000000005000: D2680087 00031F8E
	s_cmp_ge_u32 s80, 0x200                                    // 000000005008: BF09FF50 00000200
	s_cselect_b32 s59, 0x200, s59                              // 000000005010: 853B3BFF 00000200
	s_waitcnt lgkmcnt(0)                                       // 000000005018: BF8CC07F
	s_barrier                                                  // 00000000501C: BF8A0000
	s_setvskip s20, 0                                          // 000000005020: BF108014
	global_atomic_pk_add_bf16 v80, v64, s[8:9]                 // 000000005024: DD488000 00084050
	s_setvskip 0, 0                                            // 00000000502C: BF108080
	s_setvskip s20, 0                                          // 000000005030: BF108014
	global_atomic_pk_add_bf16 v80, v65, s[8:9] offset:256      // 000000005034: DD488100 00084150
	s_setvskip 0, 0                                            // 00000000503C: BF108080
	s_setvskip s20, 1                                          // 000000005040: BF108114
	global_atomic_pk_add_bf16 v82, v66, s[8:9]                 // 000000005044: DD488000 00084252
	s_setvskip 0, 0                                            // 00000000504C: BF108080
	s_setvskip s20, 1                                          // 000000005050: BF108114
	global_atomic_pk_add_bf16 v82, v67, s[8:9] offset:256      // 000000005054: DD488100 00084352
	s_setvskip 0, 0                                            // 00000000505C: BF108080
	s_setvskip s20, 2                                          // 000000005060: BF108214
	global_atomic_pk_add_bf16 v84, v68, s[8:9]                 // 000000005064: DD488000 00084454
	s_setvskip 0, 0                                            // 00000000506C: BF108080
	s_setvskip s20, 2                                          // 000000005070: BF108214
	global_atomic_pk_add_bf16 v84, v69, s[8:9] offset:256      // 000000005074: DD488100 00084554
	s_setvskip 0, 0                                            // 00000000507C: BF108080
	s_setvskip s20, 3                                          // 000000005080: BF108314
	global_atomic_pk_add_bf16 v86, v70, s[8:9]                 // 000000005084: DD488000 00084656
	s_setvskip 0, 0                                            // 00000000508C: BF108080
	s_setvskip s20, 3                                          // 000000005090: BF108314
	global_atomic_pk_add_bf16 v86, v71, s[8:9] offset:256      // 000000005094: DD488100 00084756
	s_setvskip 0, 0                                            // 00000000509C: BF108080
	s_add_u32 s8, s59, s8                                      // 0000000050A0: 8008083B
	s_addc_u32 s9, 0, s9                                       // 0000000050A4: 82090980
	s_addk_i32 s80, 0x100                                      // 0000000050A8: B7500100
	s_cmp_lt_i32 s80, s81                                      // 0000000050AC: BF045150
	s_cbranch_scc0 label_09F2                                  // 0000000050B0: BF840145
	s_waitcnt vmcnt(13) lgkmcnt(0)                             // 0000000050B4: BF8C007D
	s_barrier                                                  // 0000000050B8: BF8A0000
	v_mfma_f32_16x16x128_f8f6f4 v[112:115], a[32:39], v[96:103], 0// 0000000050BC: D3AD0070 0A02C120
	ds_read_b32 v64, v5 offset:11776                           // 0000000050C4: D86C2E00 40000005
	ds_read_b32 v65, v5 offset:16128                           // 0000000050CC: D86C3F00 41000005
	ds_read_b32 v66, v5 offset:11784                           // 0000000050D4: D86C2E08 42000005
	ds_read_b32 v67, v5 offset:16136                           // 0000000050DC: D86C3F08 43000005
	ds_read_b32 v68, v5 offset:11808                           // 0000000050E4: D86C2E20 44000005
	ds_read_b32 v69, v5 offset:16160                           // 0000000050EC: D86C3F20 45000005
	ds_read_b32 v70, v5 offset:11816                           // 0000000050F4: D86C2E28 46000005
	ds_read_b32 v71, v5 offset:16168                           // 0000000050FC: D86C3F28 47000005
	v_mfma_f32_16x16x128_f8f6f4 v[116:119], a[40:47], v[96:103], 0// 000000005104: D3AD0074 0A02C128
	buffer_load_dword v19, v6, s[16:19], 0 offen               // 00000000510C: E0501000 80041306
	buffer_load_dwordx4 a[0:3], v34, s[12:15], 0 offen         // 000000005114: E05C1000 80830022
	buffer_load_dwordx4 a[4:7], v34, s[12:15], 0 offen offset:1024// 00000000511C: E05C1400 80830422
	buffer_load_dwordx4 a[8:11], v35, s[12:15], 0 offen        // 000000005124: E05C1000 80830823
	buffer_load_dwordx4 a[12:15], v35, s[12:15], 0 offen offset:1024// 00000000512C: E05C1400 80830C23
	s_waitcnt vmcnt(13)                                        // 000000005134: BF8C0F7D
	v_mfma_f32_16x16x128_f8f6f4 v[120:123], a[48:55], v[96:103], 0// 000000005138: D3AD0078 0A02C130
	ds_write_b64 v4, v[128:129] offset:29184                   // 000000005140: D89A7200 00008004
	ds_write_b64 v4, v[130:131] offset:31360                   // 000000005148: D89A7A80 00008204
	ds_write_b64 v4, v[132:133] offset:33536                   // 000000005150: D89A8300 00008404
	ds_write_b64 v4, v[134:135] offset:35712                   // 000000005158: D89A8B80 00008604
	v_mfma_f32_16x16x128_f8f6f4 v[124:127], a[56:63], v[96:103], 0// 000000005160: D3AD007C 0A02C138
	buffer_load_dwordx4 a[16:19], v36, s[12:15], 0 offen       // 000000005168: E05C1000 80831024
	buffer_load_dwordx4 a[20:23], v36, s[12:15], 0 offen offset:1024// 000000005170: E05C1400 80831424
	buffer_load_dwordx4 a[24:27], v37, s[12:15], 0 offen       // 000000005178: E05C1000 80831825
	buffer_load_dwordx4 a[28:31], v37, s[12:15], 0 offen offset:1024// 000000005180: E05C1400 80831C25
	v_mul_f32_dpp v42, v20, v28 row_newbcast:0 row_mask:0xf bank_mask:0xf// 000000005188: 0A5438FA FF015014
	v_mov_b32_e32 v43, v42                                     // 000000005190: 7E56032A
	v_pk_mul_f32 v[112:113], v[42:43], v[112:113]              // 000000005194: D3B14070 1802E12A
	v_pk_mul_f32 v[114:115], v[42:43], v[114:115]              // 00000000519C: D3B14072 1802E52A
	v_pk_mul_f32 v[116:117], v[42:43], v[116:117]              // 0000000051A4: D3B14074 1802E92A
	v_pk_mul_f32 v[118:119], v[42:43], v[118:119]              // 0000000051AC: D3B14076 1802ED2A
	v_mul_f32_dpp v42, v20, v28 row_newbcast:1 row_mask:0xf bank_mask:0xf// 0000000051B4: 0A5438FA FF015114
	v_mov_b32_e32 v43, v42                                     // 0000000051BC: 7E56032A
	v_pk_mul_f32 v[120:121], v[42:43], v[120:121]              // 0000000051C0: D3B14078 1802F12A
	v_pk_mul_f32 v[122:123], v[42:43], v[122:123]              // 0000000051C8: D3B1407A 1802F52A
	v_pk_mul_f32 v[124:125], v[42:43], v[124:125]              // 0000000051D0: D3B1407C 1802F92A
	v_pk_mul_f32 v[126:127], v[42:43], v[126:127]              // 0000000051D8: D3B1407E 1802FD2A
	s_add_u32 s60, 0x300, s80                                  // 0000000051E0: 803C50FF 00000300
	s_cmp_lt_u32 s60, s81                                      // 0000000051E8: BF0A513C
	s_cselect_b32 s56, s56, 0                                  // 0000000051EC: 85388038
	s_cselect_b32 s78, s78, 0                                  // 0000000051F0: 854E804E
	s_cselect_b32 s79, s79, 0                                  // 0000000051F4: 854F804F
	s_add_u32 s12, s56, s12                                    // 0000000051F8: 800C0C38
	s_addc_u32 s13, 0, s13                                     // 0000000051FC: 820D0D80
	s_add_u32 s16, s79, s16                                    // 000000005200: 8010104F
	s_addc_u32 s17, 0, s17                                     // 000000005204: 82111180
	v_mov_b32_e32 v42, v23                                     // 000000005208: 7E540317
	v_mov_b32_e32 v43, v23                                     // 00000000520C: 7E560317
	v_pk_mul_f32 v[112:113], v[42:43], v[112:113]              // 000000005210: D3B14070 1802E12A
	v_pk_mul_f32 v[114:115], v[42:43], v[114:115]              // 000000005218: D3B14072 1802E52A
	v_pk_mul_f32 v[116:117], v[42:43], v[116:117]              // 000000005220: D3B14074 1802E92A
	v_pk_mul_f32 v[118:119], v[42:43], v[118:119]              // 000000005228: D3B14076 1802ED2A
	v_pk_mul_f32 v[120:121], v[42:43], v[120:121]              // 000000005230: D3B14078 1802F12A
	v_pk_mul_f32 v[122:123], v[42:43], v[122:123]              // 000000005238: D3B1407A 1802F52A
	v_pk_mul_f32 v[124:125], v[42:43], v[124:125]              // 000000005240: D3B1407C 1802F92A
	v_pk_mul_f32 v[126:127], v[42:43], v[126:127]              // 000000005248: D3B1407E 1802FD2A
	v_cvt_pk_bf16_f32 v112, v112, v113                         // 000000005250: D2680070 0002E370
	v_cvt_pk_bf16_f32 v113, v114, v115                         // 000000005258: D2680071 0002E772
	v_cvt_pk_bf16_f32 v114, v116, v117                         // 000000005260: D2680072 0002EB74
	v_cvt_pk_bf16_f32 v115, v118, v119                         // 000000005268: D2680073 0002EF76
	v_cvt_pk_bf16_f32 v116, v120, v121                         // 000000005270: D2680074 0002F378
	v_cvt_pk_bf16_f32 v117, v122, v123                         // 000000005278: D2680075 0002F77A
	v_cvt_pk_bf16_f32 v118, v124, v125                         // 000000005280: D2680076 0002FB7C
	v_cvt_pk_bf16_f32 v119, v126, v127                         // 000000005288: D2680077 0002FF7E
	s_cmp_ge_u32 s80, 0x200                                    // 000000005290: BF09FF50 00000200
	s_cselect_b32 s59, 0x200, s59                              // 000000005298: 853B3BFF 00000200
	s_waitcnt lgkmcnt(0)                                       // 0000000052A0: BF8CC07F
	s_barrier                                                  // 0000000052A4: BF8A0000
	s_setvskip s20, 0                                          // 0000000052A8: BF108014
	global_atomic_pk_add_bf16 v80, v64, s[8:9]                 // 0000000052AC: DD488000 00084050
	s_setvskip 0, 0                                            // 0000000052B4: BF108080
	s_setvskip s20, 0                                          // 0000000052B8: BF108014
	global_atomic_pk_add_bf16 v80, v65, s[8:9] offset:256      // 0000000052BC: DD488100 00084150
	s_setvskip 0, 0                                            // 0000000052C4: BF108080
	s_setvskip s20, 1                                          // 0000000052C8: BF108114
	global_atomic_pk_add_bf16 v82, v66, s[8:9]                 // 0000000052CC: DD488000 00084252
	s_setvskip 0, 0                                            // 0000000052D4: BF108080
	s_setvskip s20, 1                                          // 0000000052D8: BF108114
	global_atomic_pk_add_bf16 v82, v67, s[8:9] offset:256      // 0000000052DC: DD488100 00084352
	s_setvskip 0, 0                                            // 0000000052E4: BF108080
	s_setvskip s20, 2                                          // 0000000052E8: BF108214
	global_atomic_pk_add_bf16 v84, v68, s[8:9]                 // 0000000052EC: DD488000 00084454
	s_setvskip 0, 0                                            // 0000000052F4: BF108080
	s_setvskip s20, 2                                          // 0000000052F8: BF108214
	global_atomic_pk_add_bf16 v84, v69, s[8:9] offset:256      // 0000000052FC: DD488100 00084554
	s_setvskip 0, 0                                            // 000000005304: BF108080
	s_setvskip s20, 3                                          // 000000005308: BF108314
	global_atomic_pk_add_bf16 v86, v70, s[8:9]                 // 00000000530C: DD488000 00084656
	s_setvskip 0, 0                                            // 000000005314: BF108080
	s_setvskip s20, 3                                          // 000000005318: BF108314
	global_atomic_pk_add_bf16 v86, v71, s[8:9] offset:256      // 00000000531C: DD488100 00084756
	s_setvskip 0, 0                                            // 000000005324: BF108080
	s_add_u32 s8, s59, s8                                      // 000000005328: 8008083B
	s_addc_u32 s9, 0, s9                                       // 00000000532C: 82090980
	s_addk_i32 s80, 0x100                                      // 000000005330: B7500100
	s_cmp_lt_i32 s80, s81                                      // 000000005334: BF045150
	s_cbranch_scc0 label_09F2                                  // 000000005338: BF8400A3
	s_waitcnt vmcnt(13) lgkmcnt(0)                             // 00000000533C: BF8C007D
	s_barrier                                                  // 000000005340: BF8A0000
	v_mfma_f32_16x16x128_f8f6f4 v[128:131], a[64:71], v[96:103], 0// 000000005344: D3AD0080 0A02C140
	ds_read_b32 v64, v5 offset:29184                           // 00000000534C: D86C7200 40000005
	ds_read_b32 v65, v5 offset:33536                           // 000000005354: D86C8300 41000005
	ds_read_b32 v66, v5 offset:29192                           // 00000000535C: D86C7208 42000005
	ds_read_b32 v67, v5 offset:33544                           // 000000005364: D86C8308 43000005
	ds_read_b32 v68, v5 offset:29216                           // 00000000536C: D86C7220 44000005
	ds_read_b32 v69, v5 offset:33568                           // 000000005374: D86C8320 45000005
	ds_read_b32 v70, v5 offset:29224                           // 00000000537C: D86C7228 46000005
	ds_read_b32 v71, v5 offset:33576                           // 000000005384: D86C8328 47000005
	v_mfma_f32_16x16x128_f8f6f4 v[132:135], a[72:79], v[96:103], 0// 00000000538C: D3AD0084 0A02C148
	buffer_load_dword v20, v6, s[16:19], 0 offen               // 000000005394: E0501000 80041406
	buffer_load_dwordx4 a[32:35], v34, s[12:15], 0 offen       // 00000000539C: E05C1000 80832022
	buffer_load_dwordx4 a[36:39], v34, s[12:15], 0 offen offset:1024// 0000000053A4: E05C1400 80832422
	buffer_load_dwordx4 a[40:43], v35, s[12:15], 0 offen       // 0000000053AC: E05C1000 80832823
	buffer_load_dwordx4 a[44:47], v35, s[12:15], 0 offen offset:1024// 0000000053B4: E05C1400 80832C23
	s_waitcnt vmcnt(13)                                        // 0000000053BC: BF8C0F7D
	v_mfma_f32_16x16x128_f8f6f4 v[136:139], a[80:87], v[96:103], 0// 0000000053C0: D3AD0088 0A02C150
	ds_write_b64 v4, v[112:113] offset:11776                   // 0000000053C8: D89A2E00 00007004
	ds_write_b64 v4, v[114:115] offset:13952                   // 0000000053D0: D89A3680 00007204
	ds_write_b64 v4, v[116:117] offset:16128                   // 0000000053D8: D89A3F00 00007404
	ds_write_b64 v4, v[118:119] offset:18304                   // 0000000053E0: D89A4780 00007604
	v_mfma_f32_16x16x128_f8f6f4 v[140:143], a[88:95], v[96:103], 0// 0000000053E8: D3AD008C 0A02C158
	buffer_load_dwordx4 a[48:51], v36, s[12:15], 0 offen       // 0000000053F0: E05C1000 80833024
	buffer_load_dwordx4 a[52:55], v36, s[12:15], 0 offen offset:1024// 0000000053F8: E05C1400 80833424
	buffer_load_dwordx4 a[56:59], v37, s[12:15], 0 offen       // 000000005400: E05C1000 80833825
	buffer_load_dwordx4 a[60:63], v37, s[12:15], 0 offen offset:1024// 000000005408: E05C1400 80833C25
	v_mul_f32_dpp v42, v21, v28 row_newbcast:0 row_mask:0xf bank_mask:0xf// 000000005410: 0A5438FA FF015015
	v_mov_b32_e32 v43, v42                                     // 000000005418: 7E56032A
	v_pk_mul_f32 v[128:129], v[42:43], v[128:129]              // 00000000541C: D3B14080 1803012A
	v_pk_mul_f32 v[130:131], v[42:43], v[130:131]              // 000000005424: D3B14082 1803052A
	v_pk_mul_f32 v[132:133], v[42:43], v[132:133]              // 00000000542C: D3B14084 1803092A
	v_pk_mul_f32 v[134:135], v[42:43], v[134:135]              // 000000005434: D3B14086 18030D2A
	v_mul_f32_dpp v42, v21, v28 row_newbcast:1 row_mask:0xf bank_mask:0xf// 00000000543C: 0A5438FA FF015115
	v_mov_b32_e32 v43, v42                                     // 000000005444: 7E56032A
	v_pk_mul_f32 v[136:137], v[42:43], v[136:137]              // 000000005448: D3B14088 1803112A
	v_pk_mul_f32 v[138:139], v[42:43], v[138:139]              // 000000005450: D3B1408A 1803152A
	v_pk_mul_f32 v[140:141], v[42:43], v[140:141]              // 000000005458: D3B1408C 1803192A
	v_pk_mul_f32 v[142:143], v[42:43], v[142:143]              // 000000005460: D3B1408E 18031D2A
	s_add_u32 s60, 0x300, s80                                  // 000000005468: 803C50FF 00000300
	s_cmp_lt_u32 s60, s81                                      // 000000005470: BF0A513C
	s_cselect_b32 s56, s56, 0                                  // 000000005474: 85388038
	s_cselect_b32 s78, s78, 0                                  // 000000005478: 854E804E
	s_cselect_b32 s79, s79, 0                                  // 00000000547C: 854F804F
	s_add_u32 s12, s56, s12                                    // 000000005480: 800C0C38
	s_addc_u32 s13, 0, s13                                     // 000000005484: 820D0D80
	s_add_u32 s16, s79, s16                                    // 000000005488: 8010104F
	s_addc_u32 s17, 0, s17                                     // 00000000548C: 82111180
	v_mov_b32_e32 v42, v23                                     // 000000005490: 7E540317
	v_mov_b32_e32 v43, v23                                     // 000000005494: 7E560317
	v_pk_mul_f32 v[128:129], v[42:43], v[128:129]              // 000000005498: D3B14080 1803012A
	v_pk_mul_f32 v[130:131], v[42:43], v[130:131]              // 0000000054A0: D3B14082 1803052A
	v_pk_mul_f32 v[132:133], v[42:43], v[132:133]              // 0000000054A8: D3B14084 1803092A
	v_pk_mul_f32 v[134:135], v[42:43], v[134:135]              // 0000000054B0: D3B14086 18030D2A
	v_pk_mul_f32 v[136:137], v[42:43], v[136:137]              // 0000000054B8: D3B14088 1803112A
	v_pk_mul_f32 v[138:139], v[42:43], v[138:139]              // 0000000054C0: D3B1408A 1803152A
	v_pk_mul_f32 v[140:141], v[42:43], v[140:141]              // 0000000054C8: D3B1408C 1803192A
	v_pk_mul_f32 v[142:143], v[42:43], v[142:143]              // 0000000054D0: D3B1408E 18031D2A
	v_cvt_pk_bf16_f32 v128, v128, v129                         // 0000000054D8: D2680080 00030380
	v_cvt_pk_bf16_f32 v129, v130, v131                         // 0000000054E0: D2680081 00030782
	v_cvt_pk_bf16_f32 v130, v132, v133                         // 0000000054E8: D2680082 00030B84
	v_cvt_pk_bf16_f32 v131, v134, v135                         // 0000000054F0: D2680083 00030F86
	v_cvt_pk_bf16_f32 v132, v136, v137                         // 0000000054F8: D2680084 00031388
	v_cvt_pk_bf16_f32 v133, v138, v139                         // 000000005500: D2680085 0003178A
	v_cvt_pk_bf16_f32 v134, v140, v141                         // 000000005508: D2680086 00031B8C
	v_cvt_pk_bf16_f32 v135, v142, v143                         // 000000005510: D2680087 00031F8E
	s_cmp_ge_u32 s80, 0x200                                    // 000000005518: BF09FF50 00000200
	s_cselect_b32 s59, 0x200, s59                              // 000000005520: 853B3BFF 00000200
	s_waitcnt lgkmcnt(0)                                       // 000000005528: BF8CC07F
	s_barrier                                                  // 00000000552C: BF8A0000
	s_setvskip s20, 0                                          // 000000005530: BF108014
	global_atomic_pk_add_bf16 v80, v64, s[8:9]                 // 000000005534: DD488000 00084050
	s_setvskip 0, 0                                            // 00000000553C: BF108080
	s_setvskip s20, 0                                          // 000000005540: BF108014
	global_atomic_pk_add_bf16 v80, v65, s[8:9] offset:256      // 000000005544: DD488100 00084150
	s_setvskip 0, 0                                            // 00000000554C: BF108080
	s_setvskip s20, 1                                          // 000000005550: BF108114
	global_atomic_pk_add_bf16 v82, v66, s[8:9]                 // 000000005554: DD488000 00084252
	s_setvskip 0, 0                                            // 00000000555C: BF108080
	s_setvskip s20, 1                                          // 000000005560: BF108114
	global_atomic_pk_add_bf16 v82, v67, s[8:9] offset:256      // 000000005564: DD488100 00084352
	s_setvskip 0, 0                                            // 00000000556C: BF108080
	s_setvskip s20, 2                                          // 000000005570: BF108214
	global_atomic_pk_add_bf16 v84, v68, s[8:9]                 // 000000005574: DD488000 00084454
	s_setvskip 0, 0                                            // 00000000557C: BF108080
	s_setvskip s20, 2                                          // 000000005580: BF108214
	global_atomic_pk_add_bf16 v84, v69, s[8:9] offset:256      // 000000005584: DD488100 00084554
	s_setvskip 0, 0                                            // 00000000558C: BF108080
	s_setvskip s20, 3                                          // 000000005590: BF108314
	global_atomic_pk_add_bf16 v86, v70, s[8:9]                 // 000000005594: DD488000 00084656
	s_setvskip 0, 0                                            // 00000000559C: BF108080
	s_setvskip s20, 3                                          // 0000000055A0: BF108314
	global_atomic_pk_add_bf16 v86, v71, s[8:9] offset:256      // 0000000055A4: DD488100 00084756
	s_setvskip 0, 0                                            // 0000000055AC: BF108080
	s_add_u32 s8, s59, s8                                      // 0000000055B0: 8008083B
	s_addc_u32 s9, 0, s9                                       // 0000000055B4: 82090980
	s_addk_i32 s80, 0x100                                      // 0000000055B8: B7500100
	s_cmp_lt_i32 s80, s81                                      // 0000000055BC: BF045150
	s_cbranch_scc0 label_09F2                                  // 0000000055C0: BF840001
	s_branch label_0625                                        // 0000000055C4: BF82FC33

00000000000055c8 <label_09F2>:
	s_nop 0                                                    // 0000000055C8: BF800000
	s_nop 0                                                    // 0000000055CC: BF800000
	s_branch label_113D                                        // 0000000055D0: BF820748

00000000000055d4 <label_09F5>:
	s_waitcnt vmcnt(14) lgkmcnt(0)                             // 0000000055D4: BF8C007E
	s_barrier                                                  // 0000000055D8: BF8A0000
	v_mfma_f32_16x16x128_f8f6f4 v[104:107], a[0:7], v[112:119], 0// 0000000055DC: D3AD0068 0A02E100
	buffer_load_dwordx4 v[128:131], v30, s[20:23], 0 offen     // 0000000055E4: E05C1000 8005801E
	buffer_load_dwordx4 v[132:135], v30, s[20:23], 0 offen offset:16// 0000000055EC: E05C1010 8005841E
	buffer_load_dword v20, v11, s[32:35], 0 offen              // 0000000055F4: E0501000 8008140B
	buffer_load_dword v22, v13, s[32:35], 0 offen              // 0000000055FC: E0501000 8008160D
	buffer_load_dwordx4 a[64:67], v32, s[24:27], 0 offen       // 000000005604: E05C1000 80864020
	buffer_load_dwordx4 a[68:71], v32, s[24:27], 0 offen offset:1024// 00000000560C: E05C1400 80864420
	buffer_load_dwordx4 a[72:75], v33, s[24:27], 0 offen       // 000000005614: E05C1000 80864821
	buffer_load_dwordx4 a[76:79], v33, s[24:27], 0 offen offset:1024// 00000000561C: E05C1400 80864C21
	s_waitcnt vmcnt(14)                                        // 000000005624: BF8C0F7E
	v_mfma_f32_16x16x128_f8f6f4 v[108:111], a[8:15], v[112:119], 0// 000000005628: D3AD006C 0A02E108
	v_mul_f32_dpp v42, v19, v15 row_newbcast:0 row_mask:0xf bank_mask:0xf// 000000005630: 0A541EFA FF015013
	v_mov_b32_e32 v43, v42                                     // 000000005638: 7E56032A
	v_pk_fma_f32 v[96:97], v[104:105], v[42:43], v[96:97]      // 00000000563C: D3B04060 1D825568
	v_pk_fma_f32 v[98:99], v[106:107], v[42:43], v[98:99]      // 000000005644: D3B04062 1D8A556A
	v_pk_fma_f32 v[100:101], v[108:109], v[42:43], v[100:101]  // 00000000564C: D3B04064 1D92556C
	v_pk_fma_f32 v[102:103], v[110:111], v[42:43], v[102:103]  // 000000005654: D3B04066 1D9A556E
	s_waitcnt vmcnt(12)                                        // 00000000565C: BF8C0F7C
	v_mfma_f32_16x16x128_f8f6f4 v[104:107], a[16:23], v[120:127], 0// 000000005660: D3AD0068 0A02F110
	buffer_load_dwordx4 a[80:83], v32, s[24:27], 0 offen offset:2048// 000000005668: E05C1800 80865020
	buffer_load_dwordx4 a[84:87], v32, s[24:27], 0 offen offset:3072// 000000005670: E05C1C00 80865420
	buffer_load_dwordx4 a[88:91], v33, s[24:27], 0 offen offset:2048// 000000005678: E05C1800 80865821
	buffer_load_dwordx4 a[92:95], v33, s[24:27], 0 offen offset:3072// 000000005680: E05C1C00 80865C21
	s_waitcnt vmcnt(14)                                        // 000000005688: BF8C0F7E
	v_mfma_f32_16x16x128_f8f6f4 v[108:111], a[24:31], v[120:127], 0// 00000000568C: D3AD006C 0A02F118
	v_mul_f32_dpp v42, v19, v16 row_newbcast:2 row_mask:0xf bank_mask:0xf// 000000005694: 0A5420FA FF015213
	v_mov_b32_e32 v43, v42                                     // 00000000569C: 7E56032A
	v_pk_fma_f32 v[96:97], v[104:105], v[42:43], v[96:97]      // 0000000056A0: D3B04060 1D825568
	v_pk_fma_f32 v[98:99], v[106:107], v[42:43], v[98:99]      // 0000000056A8: D3B04062 1D8A556A
	v_pk_fma_f32 v[100:101], v[108:109], v[42:43], v[100:101]  // 0000000056B0: D3B04064 1D92556C
	v_pk_fma_f32 v[102:103], v[110:111], v[42:43], v[102:103]  // 0000000056B8: D3B04066 1D9A556E
	s_add_u32 s60, 0x200, s80                                  // 0000000056C0: 803C50FF 00000200
	s_cmp_lt_u32 s60, s81                                      // 0000000056C8: BF0A513C
	s_cselect_b32 s4, s4, 0                                    // 0000000056CC: 85048004
	s_add_u32 s32, s4, s32                                     // 0000000056D0: 80202004
	s_addc_u32 s33, 0, s33                                     // 0000000056D4: 82212180
	s_waitcnt vmcnt(0)                                         // 0000000056D8: BF8C0F70
	s_barrier                                                  // 0000000056DC: BF8A0000
	v_mfma_f32_16x16x128_f8f6f4 v[104:107], a[32:39], v[112:119], 0// 0000000056E0: D3AD0068 0A02E120
	buffer_load_dwordx4 a[96:99], v32, s[92:95], 0 offen       // 0000000056E8: E05C1000 80976020
	buffer_load_dwordx4 a[100:103], v32, s[92:95], 0 offen offset:1024// 0000000056F0: E05C1400 80976420
	buffer_load_dwordx4 a[104:107], v33, s[92:95], 0 offen     // 0000000056F8: E05C1000 80976821
	buffer_load_dwordx4 a[108:111], v33, s[92:95], 0 offen offset:1024// 000000005700: E05C1400 80976C21
	s_waitcnt vmcnt(4)                                         // 000000005708: BF8C0F74
	v_mfma_f32_16x16x128_f8f6f4 v[108:111], a[40:47], v[112:119], 0// 00000000570C: D3AD006C 0A02E128
	s_waitcnt vmcnt(4)                                         // 000000005714: BF8C0F74
	v_mov_b32_e32 v26, 0                                       // 000000005718: 7E340280
	v_lshlrev_b32_e32 v42, 16, v128                            // 00000000571C: 24550090
	v_and_b32_e32 v43, 0xffff0000, v128                        // 000000005720: 265700FF FFFF0000
	v_max3_f32 v26, |v43|, |v42|, v26                          // 000000005728: D1D3031A 046A552B
	v_lshlrev_b32_e32 v42, 16, v129                            // 000000005730: 24550290
	v_and_b32_e32 v43, 0xffff0000, v129                        // 000000005734: 265702FF FFFF0000
	v_max3_f32 v26, |v43|, |v42|, v26                          // 00000000573C: D1D3031A 046A552B
	v_lshlrev_b32_e32 v42, 16, v130                            // 000000005744: 24550490
	v_and_b32_e32 v43, 0xffff0000, v130                        // 000000005748: 265704FF FFFF0000
	v_max3_f32 v26, |v43|, |v42|, v26                          // 000000005750: D1D3031A 046A552B
	v_lshlrev_b32_e32 v42, 16, v131                            // 000000005758: 24550690
	v_and_b32_e32 v43, 0xffff0000, v131                        // 00000000575C: 265706FF FFFF0000
	v_max3_f32 v26, |v43|, |v42|, v26                          // 000000005764: D1D3031A 046A552B
	v_lshlrev_b32_e32 v42, 16, v132                            // 00000000576C: 24550890
	v_and_b32_e32 v43, 0xffff0000, v132                        // 000000005770: 265708FF FFFF0000
	v_max3_f32 v26, |v43|, |v42|, v26                          // 000000005778: D1D3031A 046A552B
	v_lshlrev_b32_e32 v42, 16, v133                            // 000000005780: 24550A90
	v_and_b32_e32 v43, 0xffff0000, v133                        // 000000005784: 26570AFF FFFF0000
	v_max3_f32 v26, |v43|, |v42|, v26                          // 00000000578C: D1D3031A 046A552B
	v_lshlrev_b32_e32 v42, 16, v134                            // 000000005794: 24550C90
	v_and_b32_e32 v43, 0xffff0000, v134                        // 000000005798: 26570CFF FFFF0000
	v_max3_f32 v26, |v43|, |v42|, v26                          // 0000000057A0: D1D3031A 046A552B
	v_lshlrev_b32_e32 v42, 16, v135                            // 0000000057A8: 24550E90
	v_and_b32_e32 v43, 0xffff0000, v135                        // 0000000057AC: 26570EFF FFFF0000
	v_max3_f32 v26, |v43|, |v42|, v26                          // 0000000057B4: D1D3031A 046A552B
	s_barrier                                                  // 0000000057BC: BF8A0000
	v_max_f32_dpp v27, v26, v26 quad_perm:[1,2,3,0] row_mask:0xf bank_mask:0xf// 0000000057C0: 163634FA FF00391A
	s_nop 1                                                    // 0000000057C8: BF800001
	v_max_f32_dpp v42, v27, v27 quad_perm:[2,3,0,1] row_mask:0xf bank_mask:0xf// 0000000057CC: 165436FA FF004E1B
	s_nop 1                                                    // 0000000057D4: BF800001
	v_max_f32_dpp v26, v42, v42 row_half_mirror row_mask:0xf bank_mask:0xf// 0000000057D8: 163454FA FF01412A
	v_rcp_f32_e32 v42, v26                                     // 0000000057E0: 7E54451A
	v_mov_b32_e32 v43, 0x43e00000                              // 0000000057E4: 7E5602FF 43E00000
	v_mul_f32_e32 v27, v43, v42                                // 0000000057EC: 0A36552B
	v_mov_b32_e32 v26, v27                                     // 0000000057F0: 7E34031B
	v_lshlrev_b32_e32 v42, 16, v128                            // 0000000057F4: 24550090
	v_and_b32_e32 v43, 0xffff0000, v128                        // 0000000057F8: 265700FF FFFF0000
	v_pk_mul_f32 v[42:43], v[42:43], v[26:27]                  // 000000005800: D3B1402A 1802352A
	v_cvt_pk_fp8_f32 v128, v42, v43                            // 000000005808: D2A20080 0002572A
	v_lshlrev_b32_e32 v42, 16, v129                            // 000000005810: 24550290
	v_and_b32_e32 v43, 0xffff0000, v129                        // 000000005814: 265702FF FFFF0000
	v_pk_mul_f32 v[42:43], v[42:43], v[26:27]                  // 00000000581C: D3B1402A 1802352A
	v_cvt_pk_fp8_f32 v128, v42, v43 op_sel:[0,0,1]             // 000000005824: D2A24080 0002572A
	v_lshlrev_b32_e32 v42, 16, v130                            // 00000000582C: 24550490
	v_and_b32_e32 v43, 0xffff0000, v130                        // 000000005830: 265704FF FFFF0000
	v_pk_mul_f32 v[42:43], v[42:43], v[26:27]                  // 000000005838: D3B1402A 1802352A
	v_cvt_pk_fp8_f32 v129, v42, v43                            // 000000005840: D2A20081 0002572A
	v_lshlrev_b32_e32 v42, 16, v131                            // 000000005848: 24550690
	v_and_b32_e32 v43, 0xffff0000, v131                        // 00000000584C: 265706FF FFFF0000
	v_pk_mul_f32 v[42:43], v[42:43], v[26:27]                  // 000000005854: D3B1402A 1802352A
	v_cvt_pk_fp8_f32 v129, v42, v43 op_sel:[0,0,1]             // 00000000585C: D2A24081 0002572A
	v_lshlrev_b32_e32 v42, 16, v132                            // 000000005864: 24550890
	v_and_b32_e32 v43, 0xffff0000, v132                        // 000000005868: 265708FF FFFF0000
	v_pk_mul_f32 v[42:43], v[42:43], v[26:27]                  // 000000005870: D3B1402A 1802352A
	v_cvt_pk_fp8_f32 v130, v42, v43                            // 000000005878: D2A20082 0002572A
	v_lshlrev_b32_e32 v42, 16, v133                            // 000000005880: 24550A90
	v_and_b32_e32 v43, 0xffff0000, v133                        // 000000005884: 26570AFF FFFF0000
	v_pk_mul_f32 v[42:43], v[42:43], v[26:27]                  // 00000000588C: D3B1402A 1802352A
	v_cvt_pk_fp8_f32 v130, v42, v43 op_sel:[0,0,1]             // 000000005894: D2A24082 0002572A
	v_lshlrev_b32_e32 v42, 16, v134                            // 00000000589C: 24550C90
	v_and_b32_e32 v43, 0xffff0000, v134                        // 0000000058A0: 26570CFF FFFF0000
	v_pk_mul_f32 v[42:43], v[42:43], v[26:27]                  // 0000000058A8: D3B1402A 1802352A
	v_cvt_pk_fp8_f32 v131, v42, v43                            // 0000000058B0: D2A20083 0002572A
	v_lshlrev_b32_e32 v42, 16, v135                            // 0000000058B8: 24550E90
	v_and_b32_e32 v43, 0xffff0000, v135                        // 0000000058BC: 26570EFF FFFF0000
	v_pk_mul_f32 v[42:43], v[42:43], v[26:27]                  // 0000000058C4: D3B1402A 1802352A
	v_cvt_pk_fp8_f32 v131, v42, v43 op_sel:[0,0,1]             // 0000000058CC: D2A24083 0002572A
	v_lshlrev_b32_e32 v42, 4, v0                               // 0000000058D4: 24540084
	v_add_u32_e64 v42, v42, s51                                // 0000000058D8: D134002A 0000672A
	ds_write_b128 v42, v[128:131]                              // 0000000058E0: D9BE0000 0000802A
	v_rcp_f32_e32 v28, v27                                     // 0000000058E8: 7E38451B
	v_add_u32_e32 v42, 0, v29                                  // 0000000058EC: 68543A80
	s_mov_b64 s[60:61], exec                                   // 0000000058F0: BEBC017E
	s_mov_b32 s62, 0xf0f0f0f                                   // 0000000058F4: BEBE00FF 0F0F0F0F
	s_mov_b32 s63, 0xf0f0f0f                                   // 0000000058FC: BEBF00FF 0F0F0F0F
	s_mov_b64 exec, s[62:63]                                   // 000000005904: BEFE013E
	ds_write_b32 v42, v28 offset:9728                          // 000000005908: D81A2600 00001C2A
	s_mov_b64 exec, s[60:61]                                   // 000000005910: BEFE013C
	v_mul_f32_dpp v42, v21, v15 row_newbcast:0 row_mask:0xf bank_mask:0xf// 000000005914: 0A541EFA FF015015
	v_mov_b32_e32 v43, v42                                     // 00000000591C: 7E56032A
	v_pk_fma_f32 v[64:65], v[104:105], v[42:43], v[64:65]      // 000000005920: D3B04040 1D025568
	v_pk_fma_f32 v[66:67], v[106:107], v[42:43], v[66:67]      // 000000005928: D3B04042 1D0A556A
	v_pk_fma_f32 v[68:69], v[108:109], v[42:43], v[68:69]      // 000000005930: D3B04044 1D12556C
	v_pk_fma_f32 v[70:71], v[110:111], v[42:43], v[70:71]      // 000000005938: D3B04046 1D1A556E
	s_waitcnt vmcnt(2)                                         // 000000005940: BF8C0F72
	v_mfma_f32_16x16x128_f8f6f4 v[104:107], a[48:55], v[120:127], 0// 000000005944: D3AD0068 0A02F130
	buffer_load_dwordx4 a[112:115], v32, s[92:95], 0 offen offset:2048// 00000000594C: E05C1800 80977020
	buffer_load_dwordx4 a[116:119], v32, s[92:95], 0 offen offset:3072// 000000005954: E05C1C00 80977420
	buffer_load_dwordx4 a[120:123], v33, s[92:95], 0 offen offset:2048// 00000000595C: E05C1800 80977821
	buffer_load_dwordx4 a[124:127], v33, s[92:95], 0 offen offset:3072// 000000005964: E05C1C00 80977C21
	s_waitcnt vmcnt(4)                                         // 00000000596C: BF8C0F74
	v_mfma_f32_16x16x128_f8f6f4 v[108:111], a[56:63], v[120:127], 0// 000000005970: D3AD006C 0A02F138
	s_waitcnt lgkmcnt(0)                                       // 000000005978: BF8CC07F
	s_barrier                                                  // 00000000597C: BF8A0000
	ds_read_b128 v[128:131], v2 offset:5376                    // 000000005980: D9FE1500 80000002
	ds_read_b128 v[132:135], v2 offset:5440                    // 000000005988: D9FE1540 84000002
	ds_read_b128 v[136:139], v2 offset:5888                    // 000000005990: D9FE1700 88000002
	ds_read_b128 v[140:143], v2 offset:5952                    // 000000005998: D9FE1740 8C000002
	ds_read_b32 v17, v3 offset:9728                            // 0000000059A0: D86C2600 11000003
	ds_read_b32 v18, v3 offset:9984                            // 0000000059A8: D86C2700 12000003
	v_mul_f32_dpp v42, v21, v16 row_newbcast:2 row_mask:0xf bank_mask:0xf// 0000000059B0: 0A5420FA FF015215
	v_mov_b32_e32 v43, v42                                     // 0000000059B8: 7E56032A
	v_pk_fma_f32 v[64:65], v[104:105], v[42:43], v[64:65]      // 0000000059BC: D3B04040 1D025568
	v_pk_fma_f32 v[66:67], v[106:107], v[42:43], v[66:67]      // 0000000059C4: D3B04042 1D0A556A
	v_pk_fma_f32 v[68:69], v[108:109], v[42:43], v[68:69]      // 0000000059CC: D3B04044 1D12556C
	v_pk_fma_f32 v[70:71], v[110:111], v[42:43], v[70:71]      // 0000000059D4: D3B04046 1D1A556E
	s_add_u32 s60, 0x200, s80                                  // 0000000059DC: 803C50FF 00000200
	s_cmp_lt_u32 s60, s81                                      // 0000000059E4: BF0A513C
	s_cselect_b32 s57, s57, 0                                  // 0000000059E8: 85398039
	s_add_u32 s60, 0x200, s80                                  // 0000000059EC: 803C50FF 00000200
	s_cmp_lt_u32 s60, s81                                      // 0000000059F4: BF0A513C
	s_cselect_b32 s58, s58, 0                                  // 0000000059F8: 853A803A
	s_cselect_b32 s90, s90, 0                                  // 0000000059FC: 855A805A
	s_add_u32 s20, s57, s20                                    // 000000005A00: 80141439
	s_addc_u32 s21, 0, s21                                     // 000000005A04: 82151580
	s_add_u32 s24, s58, s24                                    // 000000005A08: 8018183A
	s_addc_u32 s25, 0, s25                                     // 000000005A0C: 82191980
	s_add_u32 s92, s90, s92                                    // 000000005A10: 805C5C5A
	s_addc_u32 s93, 0, s93                                     // 000000005A14: 825D5D80
	s_addk_i32 s80, 0x100                                      // 000000005A18: B7500100
	s_cmp_lt_i32 s80, s81                                      // 000000005A1C: BF045150
	s_cbranch_scc0 label_0C1E                                  // 000000005A20: BF840115
	s_waitcnt vmcnt(14) lgkmcnt(0)                             // 000000005A24: BF8C007E
	s_barrier                                                  // 000000005A28: BF8A0000
	v_mfma_f32_16x16x128_f8f6f4 v[104:107], a[64:71], v[128:135], 0// 000000005A2C: D3AD0068 0A030140
	buffer_load_dwordx4 v[112:115], v30, s[20:23], 0 offen     // 000000005A34: E05C1000 8005701E
	buffer_load_dwordx4 v[116:119], v30, s[20:23], 0 offen offset:16// 000000005A3C: E05C1010 8005741E
	buffer_load_dword v19, v11, s[32:35], 0 offen              // 000000005A44: E0501000 8008130B
	buffer_load_dword v21, v13, s[32:35], 0 offen              // 000000005A4C: E0501000 8008150D
	buffer_load_dwordx4 a[0:3], v32, s[24:27], 0 offen         // 000000005A54: E05C1000 80860020
	buffer_load_dwordx4 a[4:7], v32, s[24:27], 0 offen offset:1024// 000000005A5C: E05C1400 80860420
	buffer_load_dwordx4 a[8:11], v33, s[24:27], 0 offen        // 000000005A64: E05C1000 80860821
	buffer_load_dwordx4 a[12:15], v33, s[24:27], 0 offen offset:1024// 000000005A6C: E05C1400 80860C21
	s_waitcnt vmcnt(14)                                        // 000000005A74: BF8C0F7E
	v_mfma_f32_16x16x128_f8f6f4 v[108:111], a[72:79], v[128:135], 0// 000000005A78: D3AD006C 0A030148
	v_mul_f32_dpp v42, v20, v17 row_newbcast:0 row_mask:0xf bank_mask:0xf// 000000005A80: 0A5422FA FF015014
	v_mov_b32_e32 v43, v42                                     // 000000005A88: 7E56032A
	v_pk_fma_f32 v[96:97], v[104:105], v[42:43], v[96:97]      // 000000005A8C: D3B04060 1D825568
	v_pk_fma_f32 v[98:99], v[106:107], v[42:43], v[98:99]      // 000000005A94: D3B04062 1D8A556A
	v_pk_fma_f32 v[100:101], v[108:109], v[42:43], v[100:101]  // 000000005A9C: D3B04064 1D92556C
	v_pk_fma_f32 v[102:103], v[110:111], v[42:43], v[102:103]  // 000000005AA4: D3B04066 1D9A556E
	s_waitcnt vmcnt(12)                                        // 000000005AAC: BF8C0F7C
	v_mfma_f32_16x16x128_f8f6f4 v[104:107], a[80:87], v[136:143], 0// 000000005AB0: D3AD0068 0A031150
	buffer_load_dwordx4 a[16:19], v32, s[24:27], 0 offen offset:2048// 000000005AB8: E05C1800 80861020
	buffer_load_dwordx4 a[20:23], v32, s[24:27], 0 offen offset:3072// 000000005AC0: E05C1C00 80861420
	buffer_load_dwordx4 a[24:27], v33, s[24:27], 0 offen offset:2048// 000000005AC8: E05C1800 80861821
	buffer_load_dwordx4 a[28:31], v33, s[24:27], 0 offen offset:3072// 000000005AD0: E05C1C00 80861C21
	s_waitcnt vmcnt(14)                                        // 000000005AD8: BF8C0F7E
	v_mfma_f32_16x16x128_f8f6f4 v[108:111], a[88:95], v[136:143], 0// 000000005ADC: D3AD006C 0A031158
	v_mul_f32_dpp v42, v20, v18 row_newbcast:2 row_mask:0xf bank_mask:0xf// 000000005AE4: 0A5424FA FF015214
	v_mov_b32_e32 v43, v42                                     // 000000005AEC: 7E56032A
	v_pk_fma_f32 v[96:97], v[104:105], v[42:43], v[96:97]      // 000000005AF0: D3B04060 1D825568
	v_pk_fma_f32 v[98:99], v[106:107], v[42:43], v[98:99]      // 000000005AF8: D3B04062 1D8A556A
	v_pk_fma_f32 v[100:101], v[108:109], v[42:43], v[100:101]  // 000000005B00: D3B04064 1D92556C
	v_pk_fma_f32 v[102:103], v[110:111], v[42:43], v[102:103]  // 000000005B08: D3B04066 1D9A556E
	s_add_u32 s60, 0x200, s80                                  // 000000005B10: 803C50FF 00000200
	s_cmp_lt_u32 s60, s81                                      // 000000005B18: BF0A513C
	s_cselect_b32 s4, s4, 0                                    // 000000005B1C: 85048004
	s_add_u32 s32, s4, s32                                     // 000000005B20: 80202004
	s_addc_u32 s33, 0, s33                                     // 000000005B24: 82212180
	s_waitcnt vmcnt(0)                                         // 000000005B28: BF8C0F70
	s_barrier                                                  // 000000005B2C: BF8A0000
	v_mfma_f32_16x16x128_f8f6f4 v[104:107], a[96:103], v[128:135], 0// 000000005B30: D3AD0068 0A030160
	buffer_load_dwordx4 a[32:35], v32, s[92:95], 0 offen       // 000000005B38: E05C1000 80972020
	buffer_load_dwordx4 a[36:39], v32, s[92:95], 0 offen offset:1024// 000000005B40: E05C1400 80972420
	buffer_load_dwordx4 a[40:43], v33, s[92:95], 0 offen       // 000000005B48: E05C1000 80972821
	buffer_load_dwordx4 a[44:47], v33, s[92:95], 0 offen offset:1024// 000000005B50: E05C1400 80972C21
	s_waitcnt vmcnt(4)                                         // 000000005B58: BF8C0F74
	v_mfma_f32_16x16x128_f8f6f4 v[108:111], a[104:111], v[128:135], 0// 000000005B5C: D3AD006C 0A030168
	s_waitcnt vmcnt(4)                                         // 000000005B64: BF8C0F74
	v_mov_b32_e32 v26, 0                                       // 000000005B68: 7E340280
	v_lshlrev_b32_e32 v42, 16, v112                            // 000000005B6C: 2454E090
	v_and_b32_e32 v43, 0xffff0000, v112                        // 000000005B70: 2656E0FF FFFF0000
	v_max3_f32 v26, |v43|, |v42|, v26                          // 000000005B78: D1D3031A 046A552B
	v_lshlrev_b32_e32 v42, 16, v113                            // 000000005B80: 2454E290
	v_and_b32_e32 v43, 0xffff0000, v113                        // 000000005B84: 2656E2FF FFFF0000
	v_max3_f32 v26, |v43|, |v42|, v26                          // 000000005B8C: D1D3031A 046A552B
	v_lshlrev_b32_e32 v42, 16, v114                            // 000000005B94: 2454E490
	v_and_b32_e32 v43, 0xffff0000, v114                        // 000000005B98: 2656E4FF FFFF0000
	v_max3_f32 v26, |v43|, |v42|, v26                          // 000000005BA0: D1D3031A 046A552B
	v_lshlrev_b32_e32 v42, 16, v115                            // 000000005BA8: 2454E690
	v_and_b32_e32 v43, 0xffff0000, v115                        // 000000005BAC: 2656E6FF FFFF0000
	v_max3_f32 v26, |v43|, |v42|, v26                          // 000000005BB4: D1D3031A 046A552B
	v_lshlrev_b32_e32 v42, 16, v116                            // 000000005BBC: 2454E890
	v_and_b32_e32 v43, 0xffff0000, v116                        // 000000005BC0: 2656E8FF FFFF0000
	v_max3_f32 v26, |v43|, |v42|, v26                          // 000000005BC8: D1D3031A 046A552B
	v_lshlrev_b32_e32 v42, 16, v117                            // 000000005BD0: 2454EA90
	v_and_b32_e32 v43, 0xffff0000, v117                        // 000000005BD4: 2656EAFF FFFF0000
	v_max3_f32 v26, |v43|, |v42|, v26                          // 000000005BDC: D1D3031A 046A552B
	v_lshlrev_b32_e32 v42, 16, v118                            // 000000005BE4: 2454EC90
	v_and_b32_e32 v43, 0xffff0000, v118                        // 000000005BE8: 2656ECFF FFFF0000
	v_max3_f32 v26, |v43|, |v42|, v26                          // 000000005BF0: D1D3031A 046A552B
	v_lshlrev_b32_e32 v42, 16, v119                            // 000000005BF8: 2454EE90
	v_and_b32_e32 v43, 0xffff0000, v119                        // 000000005BFC: 2656EEFF FFFF0000
	v_max3_f32 v26, |v43|, |v42|, v26                          // 000000005C04: D1D3031A 046A552B
	s_barrier                                                  // 000000005C0C: BF8A0000
	v_max_f32_dpp v27, v26, v26 quad_perm:[1,2,3,0] row_mask:0xf bank_mask:0xf// 000000005C10: 163634FA FF00391A
	s_nop 1                                                    // 000000005C18: BF800001
	v_max_f32_dpp v42, v27, v27 quad_perm:[2,3,0,1] row_mask:0xf bank_mask:0xf// 000000005C1C: 165436FA FF004E1B
	s_nop 1                                                    // 000000005C24: BF800001
	v_max_f32_dpp v26, v42, v42 row_half_mirror row_mask:0xf bank_mask:0xf// 000000005C28: 163454FA FF01412A
	v_rcp_f32_e32 v42, v26                                     // 000000005C30: 7E54451A
	v_mov_b32_e32 v43, 0x43e00000                              // 000000005C34: 7E5602FF 43E00000
	v_mul_f32_e32 v27, v43, v42                                // 000000005C3C: 0A36552B
	v_mov_b32_e32 v26, v27                                     // 000000005C40: 7E34031B
	v_lshlrev_b32_e32 v42, 16, v112                            // 000000005C44: 2454E090
	v_and_b32_e32 v43, 0xffff0000, v112                        // 000000005C48: 2656E0FF FFFF0000
	v_pk_mul_f32 v[42:43], v[42:43], v[26:27]                  // 000000005C50: D3B1402A 1802352A
	v_cvt_pk_fp8_f32 v112, v42, v43                            // 000000005C58: D2A20070 0002572A
	v_lshlrev_b32_e32 v42, 16, v113                            // 000000005C60: 2454E290
	v_and_b32_e32 v43, 0xffff0000, v113                        // 000000005C64: 2656E2FF FFFF0000
	v_pk_mul_f32 v[42:43], v[42:43], v[26:27]                  // 000000005C6C: D3B1402A 1802352A
	v_cvt_pk_fp8_f32 v112, v42, v43 op_sel:[0,0,1]             // 000000005C74: D2A24070 0002572A
	v_lshlrev_b32_e32 v42, 16, v114                            // 000000005C7C: 2454E490
	v_and_b32_e32 v43, 0xffff0000, v114                        // 000000005C80: 2656E4FF FFFF0000
	v_pk_mul_f32 v[42:43], v[42:43], v[26:27]                  // 000000005C88: D3B1402A 1802352A
	v_cvt_pk_fp8_f32 v113, v42, v43                            // 000000005C90: D2A20071 0002572A
	v_lshlrev_b32_e32 v42, 16, v115                            // 000000005C98: 2454E690
	v_and_b32_e32 v43, 0xffff0000, v115                        // 000000005C9C: 2656E6FF FFFF0000
	v_pk_mul_f32 v[42:43], v[42:43], v[26:27]                  // 000000005CA4: D3B1402A 1802352A
	v_cvt_pk_fp8_f32 v113, v42, v43 op_sel:[0,0,1]             // 000000005CAC: D2A24071 0002572A
	v_lshlrev_b32_e32 v42, 16, v116                            // 000000005CB4: 2454E890
	v_and_b32_e32 v43, 0xffff0000, v116                        // 000000005CB8: 2656E8FF FFFF0000
	v_pk_mul_f32 v[42:43], v[42:43], v[26:27]                  // 000000005CC0: D3B1402A 1802352A
	v_cvt_pk_fp8_f32 v114, v42, v43                            // 000000005CC8: D2A20072 0002572A
	v_lshlrev_b32_e32 v42, 16, v117                            // 000000005CD0: 2454EA90
	v_and_b32_e32 v43, 0xffff0000, v117                        // 000000005CD4: 2656EAFF FFFF0000
	v_pk_mul_f32 v[42:43], v[42:43], v[26:27]                  // 000000005CDC: D3B1402A 1802352A
	v_cvt_pk_fp8_f32 v114, v42, v43 op_sel:[0,0,1]             // 000000005CE4: D2A24072 0002572A
	v_lshlrev_b32_e32 v42, 16, v118                            // 000000005CEC: 2454EC90
	v_and_b32_e32 v43, 0xffff0000, v118                        // 000000005CF0: 2656ECFF FFFF0000
	v_pk_mul_f32 v[42:43], v[42:43], v[26:27]                  // 000000005CF8: D3B1402A 1802352A
	v_cvt_pk_fp8_f32 v115, v42, v43                            // 000000005D00: D2A20073 0002572A
	v_lshlrev_b32_e32 v42, 16, v119                            // 000000005D08: 2454EE90
	v_and_b32_e32 v43, 0xffff0000, v119                        // 000000005D0C: 2656EEFF FFFF0000
	v_pk_mul_f32 v[42:43], v[42:43], v[26:27]                  // 000000005D14: D3B1402A 1802352A
	v_cvt_pk_fp8_f32 v115, v42, v43 op_sel:[0,0,1]             // 000000005D1C: D2A24073 0002572A
	v_lshlrev_b32_e32 v42, 4, v0                               // 000000005D24: 24540084
	v_add_u32_e64 v42, v42, s50                                // 000000005D28: D134002A 0000652A
	ds_write_b128 v42, v[112:115]                              // 000000005D30: D9BE0000 0000702A
	v_rcp_f32_e32 v28, v27                                     // 000000005D38: 7E38451B
	v_add_u32_e32 v42, 0, v29                                  // 000000005D3C: 68543A80
	s_mov_b64 s[60:61], exec                                   // 000000005D40: BEBC017E
	s_mov_b32 s62, 0xf0f0f0f                                   // 000000005D44: BEBE00FF 0F0F0F0F
	s_mov_b32 s63, 0xf0f0f0f                                   // 000000005D4C: BEBF00FF 0F0F0F0F
	s_mov_b64 exec, s[62:63]                                   // 000000005D54: BEFE013E
	ds_write_b32 v42, v28 offset:4352                          // 000000005D58: D81A1100 00001C2A
	s_mov_b64 exec, s[60:61]                                   // 000000005D60: BEFE013C
	v_mul_f32_dpp v42, v22, v17 row_newbcast:0 row_mask:0xf bank_mask:0xf// 000000005D64: 0A5422FA FF015016
	v_mov_b32_e32 v43, v42                                     // 000000005D6C: 7E56032A
	v_pk_fma_f32 v[64:65], v[104:105], v[42:43], v[64:65]      // 000000005D70: D3B04040 1D025568
	v_pk_fma_f32 v[66:67], v[106:107], v[42:43], v[66:67]      // 000000005D78: D3B04042 1D0A556A
	v_pk_fma_f32 v[68:69], v[108:109], v[42:43], v[68:69]      // 000000005D80: D3B04044 1D12556C
	v_pk_fma_f32 v[70:71], v[110:111], v[42:43], v[70:71]      // 000000005D88: D3B04046 1D1A556E
	s_waitcnt vmcnt(2)                                         // 000000005D90: BF8C0F72
	v_mfma_f32_16x16x128_f8f6f4 v[104:107], a[112:119], v[136:143], 0// 000000005D94: D3AD0068 0A031170
	buffer_load_dwordx4 a[48:51], v32, s[92:95], 0 offen offset:2048// 000000005D9C: E05C1800 80973020
	buffer_load_dwordx4 a[52:55], v32, s[92:95], 0 offen offset:3072// 000000005DA4: E05C1C00 80973420
	buffer_load_dwordx4 a[56:59], v33, s[92:95], 0 offen offset:2048// 000000005DAC: E05C1800 80973821
	buffer_load_dwordx4 a[60:63], v33, s[92:95], 0 offen offset:3072// 000000005DB4: E05C1C00 80973C21
	s_waitcnt vmcnt(4)                                         // 000000005DBC: BF8C0F74
	v_mfma_f32_16x16x128_f8f6f4 v[108:111], a[120:127], v[136:143], 0// 000000005DC0: D3AD006C 0A031178
	s_waitcnt lgkmcnt(0)                                       // 000000005DC8: BF8CC07F
	s_barrier                                                  // 000000005DCC: BF8A0000
	ds_read_b128 v[112:115], v2                                // 000000005DD0: D9FE0000 70000002
	ds_read_b128 v[116:119], v2 offset:64                      // 000000005DD8: D9FE0040 74000002
	ds_read_b128 v[120:123], v2 offset:512                     // 000000005DE0: D9FE0200 78000002
	ds_read_b128 v[124:127], v2 offset:576                     // 000000005DE8: D9FE0240 7C000002
	ds_read_b32 v15, v3 offset:4352                            // 000000005DF0: D86C1100 0F000003
	ds_read_b32 v16, v3 offset:4608                            // 000000005DF8: D86C1200 10000003
	v_mul_f32_dpp v42, v22, v18 row_newbcast:2 row_mask:0xf bank_mask:0xf// 000000005E00: 0A5424FA FF015216
	v_mov_b32_e32 v43, v42                                     // 000000005E08: 7E56032A
	v_pk_fma_f32 v[64:65], v[104:105], v[42:43], v[64:65]      // 000000005E0C: D3B04040 1D025568
	v_pk_fma_f32 v[66:67], v[106:107], v[42:43], v[66:67]      // 000000005E14: D3B04042 1D0A556A
	v_pk_fma_f32 v[68:69], v[108:109], v[42:43], v[68:69]      // 000000005E1C: D3B04044 1D12556C
	v_pk_fma_f32 v[70:71], v[110:111], v[42:43], v[70:71]      // 000000005E24: D3B04046 1D1A556E
	s_add_u32 s60, 0x200, s80                                  // 000000005E2C: 803C50FF 00000200
	s_cmp_lt_u32 s60, s81                                      // 000000005E34: BF0A513C
	s_cselect_b32 s57, s57, 0                                  // 000000005E38: 85398039
	s_add_u32 s60, 0x200, s80                                  // 000000005E3C: 803C50FF 00000200
	s_cmp_lt_u32 s60, s81                                      // 000000005E44: BF0A513C
	s_cselect_b32 s58, s58, 0                                  // 000000005E48: 853A803A
	s_cselect_b32 s90, s90, 0                                  // 000000005E4C: 855A805A
	s_add_u32 s20, s57, s20                                    // 000000005E50: 80141439
	s_addc_u32 s21, 0, s21                                     // 000000005E54: 82151580
	s_add_u32 s24, s58, s24                                    // 000000005E58: 8018183A
	s_addc_u32 s25, 0, s25                                     // 000000005E5C: 82191980
	s_add_u32 s92, s90, s92                                    // 000000005E60: 805C5C5A
	s_addc_u32 s93, 0, s93                                     // 000000005E64: 825D5D80
	s_addk_i32 s80, 0x100                                      // 000000005E68: B7500100
	s_cmp_lt_i32 s80, s81                                      // 000000005E6C: BF045150
	s_cbranch_scc0 label_0C1E                                  // 000000005E70: BF840001
	s_branch label_09F5                                        // 000000005E74: BF82FDD7

0000000000005e78 <label_0C1E>:
	s_mov_b32 s20, 0                                           // 000000005E78: BE940080
	s_cmp_lt_u32 s89, s66                                      // 000000005E7C: BF0A4259
	s_cselect_b32 s60, 0, 1                                    // 000000005E80: 853C8180
	s_lshl1_add_u32 s20, s20, s60                              // 000000005E84: 97143C14
	s_cmp_lt_u32 s88, s66                                      // 000000005E88: BF0A4258
	s_cselect_b32 s60, 0, 1                                    // 000000005E8C: 853C8180
	s_lshl1_add_u32 s20, s20, s60                              // 000000005E90: 97143C14
	s_cmp_lt_u32 s87, s66                                      // 000000005E94: BF0A4257
	s_cselect_b32 s60, 0, 1                                    // 000000005E98: 853C8180
	s_lshl1_add_u32 s20, s20, s60                              // 000000005E9C: 97143C14
	s_cmp_lt_u32 s86, s66                                      // 000000005EA0: BF0A4256
	s_cselect_b32 s60, 0, 1                                    // 000000005EA4: 853C8180
	s_lshl1_add_u32 s20, s20, s60                              // 000000005EA8: 97143C14
	s_cmp_lt_u32 s85, s66                                      // 000000005EAC: BF0A4255
	s_cselect_b32 s60, 0, 1                                    // 000000005EB0: 853C8180
	s_lshl1_add_u32 s20, s20, s60                              // 000000005EB4: 97143C14
	s_cmp_lt_u32 s84, s66                                      // 000000005EB8: BF0A4254
	s_cselect_b32 s60, 0, 1                                    // 000000005EBC: 853C8180
	s_lshl1_add_u32 s20, s20, s60                              // 000000005EC0: 97143C14
	s_cmp_lt_u32 s83, s66                                      // 000000005EC4: BF0A4253
	s_cselect_b32 s60, 0, 1                                    // 000000005EC8: 853C8180
	s_lshl1_add_u32 s20, s20, s60                              // 000000005ECC: 97143C14
	s_cmp_lt_u32 s82, s66                                      // 000000005ED0: BF0A4252
	s_cselect_b32 s60, 0, 1                                    // 000000005ED4: 853C8180
	s_lshl1_add_u32 s20, s20, s60                              // 000000005ED8: 97143C14
	s_waitcnt vmcnt(4)                                         // 000000005EDC: BF8C0F74
	buffer_load_dword v19, v6, s[16:19], 0 offen               // 000000005EE0: E0501000 80041306
	s_add_u32 s16, s79, s16                                    // 000000005EE8: 8010104F
	s_addc_u32 s17, 0, s17                                     // 000000005EEC: 82111180
	buffer_load_dwordx4 a[0:3], v34, s[12:15], 0 offen         // 000000005EF0: E05C1000 80830022
	buffer_load_dwordx4 a[4:7], v34, s[12:15], 0 offen offset:1024// 000000005EF8: E05C1400 80830422
	buffer_load_dwordx4 a[8:11], v35, s[12:15], 0 offen        // 000000005F00: E05C1000 80830823
	buffer_load_dwordx4 a[12:15], v35, s[12:15], 0 offen offset:1024// 000000005F08: E05C1400 80830C23
	v_mul_f32_e32 v42, v96, v96                                // 000000005F10: 0A54C160
	v_mul_f32_e32 v43, v97, v97                                // 000000005F14: 0A56C361
	v_mul_f32_e32 v44, v98, v98                                // 000000005F18: 0A58C562
	v_mul_f32_e32 v45, v99, v99                                // 000000005F1C: 0A5AC763
	v_fma_f32 v42, v42, s77, v1                                // 000000005F20: D1CB002A 04049B2A
	v_fma_f32 v43, v43, s77, v1                                // 000000005F28: D1CB002B 04049B2B
	v_fma_f32 v44, v44, s77, v1                                // 000000005F30: D1CB002C 04049B2C
	v_fma_f32 v45, v45, s77, v1                                // 000000005F38: D1CB002D 04049B2D
	v_mul_f32_e32 v42, v42, v96                                // 000000005F40: 0A54C12A
	v_mul_f32_e32 v43, v43, v97                                // 000000005F44: 0A56C32B
	v_mul_f32_e32 v44, v44, v98                                // 000000005F48: 0A58C52C
	v_mul_f32_e32 v45, v45, v99                                // 000000005F4C: 0A5AC72D
	v_mul_f32_e64 v42, v42, s6                                 // 000000005F50: D105002A 00000D2A
	v_mul_f32_e64 v43, v43, s6                                 // 000000005F58: D105002B 00000D2B
	v_mul_f32_e64 v44, v44, s6                                 // 000000005F60: D105002C 00000D2C
	v_mul_f32_e64 v45, v45, s6                                 // 000000005F68: D105002D 00000D2D
	v_exp_f32_e32 v42, v42                                     // 000000005F70: 7E54412A
	v_exp_f32_e32 v43, v43                                     // 000000005F74: 7E56412B
	v_exp_f32_e32 v44, v44                                     // 000000005F78: 7E58412C
	v_exp_f32_e32 v45, v45                                     // 000000005F7C: 7E5A412D
	buffer_load_dwordx4 a[16:19], v36, s[12:15], 0 offen       // 000000005F80: E05C1000 80831024
	buffer_load_dwordx4 a[20:23], v36, s[12:15], 0 offen offset:1024// 000000005F88: E05C1400 80831424
	buffer_load_dwordx4 a[24:27], v37, s[12:15], 0 offen       // 000000005F90: E05C1000 80831825
	buffer_load_dwordx4 a[28:31], v37, s[12:15], 0 offen offset:1024// 000000005F98: E05C1400 80831C25
	s_add_u32 s12, s56, s12                                    // 000000005FA0: 800C0C38
	s_addc_u32 s13, 0, s13                                     // 000000005FA4: 820D0D80
	v_add_f32_e64 v42, v42, 1.0                                // 000000005FA8: D101002A 0001E52A
	v_add_f32_e64 v43, v43, 1.0                                // 000000005FB0: D101002B 0001E52B
	v_add_f32_e64 v44, v44, 1.0                                // 000000005FB8: D101002C 0001E52C
	v_add_f32_e64 v45, v45, 1.0                                // 000000005FC0: D101002D 0001E52D
	v_rcp_f32_e32 v42, v42                                     // 000000005FC8: 7E54452A
	v_rcp_f32_e32 v43, v43                                     // 000000005FCC: 7E56452B
	v_rcp_f32_e32 v44, v44                                     // 000000005FD0: 7E58452C
	v_rcp_f32_e32 v45, v45                                     // 000000005FD4: 7E5A452D
	v_mul_f32_e32 v96, v96, v42                                // 000000005FD8: 0AC05560
	v_mul_f32_e32 v97, v97, v43                                // 000000005FDC: 0AC25761
	v_mul_f32_e32 v98, v98, v44                                // 000000005FE0: 0AC45962
	v_mul_f32_e32 v99, v99, v45                                // 000000005FE4: 0AC65B63
	v_mul_f32_e32 v96, v96, v64                                // 000000005FE8: 0AC08160
	v_mul_f32_e32 v97, v97, v65                                // 000000005FEC: 0AC28361
	v_mul_f32_e32 v98, v98, v66                                // 000000005FF0: 0AC48562
	v_mul_f32_e32 v99, v99, v67                                // 000000005FF4: 0AC68763
	s_waitcnt vmcnt(4)                                         // 000000005FF8: BF8C0F74
	buffer_load_dword v20, v6, s[16:19], 0 offen               // 000000005FFC: E0501000 80041406
	s_add_u32 s16, s79, s16                                    // 000000006004: 8010104F
	s_addc_u32 s17, 0, s17                                     // 000000006008: 82111180
	buffer_load_dwordx4 a[32:35], v34, s[12:15], 0 offen       // 00000000600C: E05C1000 80832022
	buffer_load_dwordx4 a[36:39], v34, s[12:15], 0 offen offset:1024// 000000006014: E05C1400 80832422
	buffer_load_dwordx4 a[40:43], v35, s[12:15], 0 offen       // 00000000601C: E05C1000 80832823
	buffer_load_dwordx4 a[44:47], v35, s[12:15], 0 offen offset:1024// 000000006024: E05C1400 80832C23
	v_mul_f32_e32 v42, v100, v100                              // 00000000602C: 0A54C964
	v_mul_f32_e32 v43, v101, v101                              // 000000006030: 0A56CB65
	v_mul_f32_e32 v44, v102, v102                              // 000000006034: 0A58CD66
	v_mul_f32_e32 v45, v103, v103                              // 000000006038: 0A5ACF67
	v_fma_f32 v42, v42, s77, v1                                // 00000000603C: D1CB002A 04049B2A
	v_fma_f32 v43, v43, s77, v1                                // 000000006044: D1CB002B 04049B2B
	v_fma_f32 v44, v44, s77, v1                                // 00000000604C: D1CB002C 04049B2C
	v_fma_f32 v45, v45, s77, v1                                // 000000006054: D1CB002D 04049B2D
	v_mul_f32_e32 v42, v42, v100                               // 00000000605C: 0A54C92A
	v_mul_f32_e32 v43, v43, v101                               // 000000006060: 0A56CB2B
	v_mul_f32_e32 v44, v44, v102                               // 000000006064: 0A58CD2C
	v_mul_f32_e32 v45, v45, v103                               // 000000006068: 0A5ACF2D
	v_mul_f32_e64 v42, v42, s6                                 // 00000000606C: D105002A 00000D2A
	v_mul_f32_e64 v43, v43, s6                                 // 000000006074: D105002B 00000D2B
	v_mul_f32_e64 v44, v44, s6                                 // 00000000607C: D105002C 00000D2C
	v_mul_f32_e64 v45, v45, s6                                 // 000000006084: D105002D 00000D2D
	v_exp_f32_e32 v42, v42                                     // 00000000608C: 7E54412A
	v_exp_f32_e32 v43, v43                                     // 000000006090: 7E56412B
	v_exp_f32_e32 v44, v44                                     // 000000006094: 7E58412C
	v_exp_f32_e32 v45, v45                                     // 000000006098: 7E5A412D
	buffer_load_dwordx4 a[48:51], v36, s[12:15], 0 offen       // 00000000609C: E05C1000 80833024
	buffer_load_dwordx4 a[52:55], v36, s[12:15], 0 offen offset:1024// 0000000060A4: E05C1400 80833424
	buffer_load_dwordx4 a[56:59], v37, s[12:15], 0 offen       // 0000000060AC: E05C1000 80833825
	buffer_load_dwordx4 a[60:63], v37, s[12:15], 0 offen offset:1024// 0000000060B4: E05C1400 80833C25
	s_add_u32 s12, s56, s12                                    // 0000000060BC: 800C0C38
	s_addc_u32 s13, 0, s13                                     // 0000000060C0: 820D0D80
	v_add_f32_e64 v42, v42, 1.0                                // 0000000060C4: D101002A 0001E52A
	v_add_f32_e64 v43, v43, 1.0                                // 0000000060CC: D101002B 0001E52B
	v_add_f32_e64 v44, v44, 1.0                                // 0000000060D4: D101002C 0001E52C
	v_add_f32_e64 v45, v45, 1.0                                // 0000000060DC: D101002D 0001E52D
	v_rcp_f32_e32 v42, v42                                     // 0000000060E4: 7E54452A
	v_rcp_f32_e32 v43, v43                                     // 0000000060E8: 7E56452B
	v_rcp_f32_e32 v44, v44                                     // 0000000060EC: 7E58452C
	v_rcp_f32_e32 v45, v45                                     // 0000000060F0: 7E5A452D
	v_mul_f32_e32 v100, v100, v42                              // 0000000060F4: 0AC85564
	v_mul_f32_e32 v101, v101, v43                              // 0000000060F8: 0ACA5765
	v_mul_f32_e32 v102, v102, v44                              // 0000000060FC: 0ACC5966
	v_mul_f32_e32 v103, v103, v45                              // 000000006100: 0ACE5B67
	v_mul_f32_e32 v100, v100, v68                              // 000000006104: 0AC88964
	v_mul_f32_e32 v101, v101, v69                              // 000000006108: 0ACA8B65
	v_mul_f32_e32 v102, v102, v70                              // 00000000610C: 0ACC8D66
	v_mul_f32_e32 v103, v103, v71                              // 000000006110: 0ACE8F67
	v_lshlrev_b32_e32 v42, 2, v0                               // 000000006114: 24540082
	s_mul_i32 s60, s82, s71                                    // 000000006118: 923C4752
	v_add_u32_e64 v80, v42, s60                                // 00000000611C: D1340050 0000792A
	v_mov_b32_e32 v81, 0                                       // 000000006124: 7EA20280
	s_mul_i32 s60, s83, s71                                    // 000000006128: 923C4753
	v_add_u32_e64 v82, v42, s60                                // 00000000612C: D1340052 0000792A
	v_mov_b32_e32 v83, 0                                       // 000000006134: 7EA60280
	s_mul_i32 s60, s84, s71                                    // 000000006138: 923C4754
	v_add_u32_e64 v84, v42, s60                                // 00000000613C: D1340054 0000792A
	v_mov_b32_e32 v85, 0                                       // 000000006144: 7EAA0280
	s_mul_i32 s60, s85, s71                                    // 000000006148: 923C4755
	v_add_u32_e64 v86, v42, s60                                // 00000000614C: D1340056 0000792A
	v_mov_b32_e32 v87, 0                                       // 000000006154: 7EAE0280
	v_mov_b32_e32 v26, 0x358637bd                              // 000000006158: 7E3402FF 358637BD
	v_max3_f32 v26, |v96|, |v97|, v26                          // 000000006160: D1D3031A 046AC360
	v_max3_f32 v26, |v98|, |v99|, v26                          // 000000006168: D1D3031A 046AC762
	v_max3_f32 v26, |v100|, |v101|, v26                        // 000000006170: D1D3031A 046ACB64
	v_max3_f32 v26, |v102|, |v103|, v26                        // 000000006178: D1D3031A 046ACF66
	v_mov_b32_e32 v42, v26                                     // 000000006180: 7E54031A
	s_nop 1                                                    // 000000006184: BF800001
	v_permlane32_swap_b32_e32 v42, v26                         // 000000006188: 7E54B51A
	v_max_f32_e32 v26, v42, v26                                // 00000000618C: 1634352A
	v_mov_b32_e32 v42, v26                                     // 000000006190: 7E54031A
	s_nop 1                                                    // 000000006194: BF800001
	v_permlane16_swap_b32_e32 v42, v26                         // 000000006198: 7E54B31A
	v_max_f32_e32 v26, v42, v26                                // 00000000619C: 1634352A
	v_lshlrev_b32_e32 v42, 2, v0                               // 0000000061A0: 24540082
	s_mul_i32 s60, 64, s7                                      // 0000000061A4: 923C07C0
	v_add_u32_e32 v42, s60, v42                                // 0000000061A8: 6854543C
	s_mov_b32 s60, 0xffff                                      // 0000000061AC: BEBC00FF 0000FFFF
	s_mov_b32 s61, 0                                           // 0000000061B4: BEBD0080
	s_mov_b64 exec, s[60:61]                                   // 0000000061B8: BEFE013C
	ds_write_b32 v42, v26 offset:10752                         // 0000000061BC: D81A2A00 00001A2A
	s_mov_b32 s60, -1                                          // 0000000061C4: BEBC00C1
	s_mov_b32 s61, -1                                          // 0000000061C8: BEBD00C1
	s_mov_b64 exec, s[60:61]                                   // 0000000061CC: BEFE013C
	s_waitcnt lgkmcnt(0)                                       // 0000000061D0: BF8CC07F
	s_barrier                                                  // 0000000061D4: BF8A0000
	v_lshlrev_b32_e32 v42, 2, v0                               // 0000000061D8: 24540082
	ds_read_b32 v104, v42 offset:10752                         // 0000000061DC: D86C2A00 6800002A
	s_waitcnt lgkmcnt(0)                                       // 0000000061E4: BF8CC07F
	v_mov_b32_e32 v42, v104                                    // 0000000061E8: 7E540368
	s_nop 1                                                    // 0000000061EC: BF800001
	v_permlane32_swap_b32_e32 v42, v104                        // 0000000061F0: 7E54B568
	v_max_f32_e32 v104, v42, v104                              // 0000000061F4: 16D0D12A
	v_mov_b32_e32 v42, v104                                    // 0000000061F8: 7E540368
	s_nop 1                                                    // 0000000061FC: BF800001
	v_permlane16_swap_b32_e32 v42, v104                        // 000000006200: 7E54B368
	v_max_f32_e32 v104, v42, v104                              // 000000006204: 16D0D12A
	v_max_f32_e32 v26, v104, v26                               // 000000006208: 16343568
	v_rcp_f32_e32 v26, v26                                     // 00000000620C: 7E34451A
	v_mov_b32_e32 v42, 0x43e00000                              // 000000006210: 7E5402FF 43E00000
	v_mul_f32_e32 v26, v42, v26                                // 000000006218: 0A34352A
	v_mul_f32_e32 v96, v26, v96                                // 00000000621C: 0AC0C11A
	v_mul_f32_e32 v97, v26, v97                                // 000000006220: 0AC2C31A
	v_mul_f32_e32 v98, v26, v98                                // 000000006224: 0AC4C51A
	v_mul_f32_e32 v99, v26, v99                                // 000000006228: 0AC6C71A
	v_cvt_pk_fp8_f32 v96, v96, v97                             // 00000000622C: D2A20060 0002C360
	v_cvt_pk_fp8_f32 v96, v98, v99 op_sel:[0,0,1]              // 000000006234: D2A24060 0002C762
	v_mul_f32_e32 v100, v26, v100                              // 00000000623C: 0AC8C91A
	v_mul_f32_e32 v101, v26, v101                              // 000000006240: 0ACACB1A
	v_mul_f32_e32 v102, v26, v102                              // 000000006244: 0ACCCD1A
	v_mul_f32_e32 v103, v26, v103                              // 000000006248: 0ACECF1A
	v_cvt_pk_fp8_f32 v97, v100, v101                           // 00000000624C: D2A20061 0002CB64
	v_cvt_pk_fp8_f32 v97, v102, v103 op_sel:[0,0,1]            // 000000006254: D2A24061 0002CF66
	v_rcp_f32_e32 v28, v26                                     // 00000000625C: 7E38451A
	v_nop                                                      // 000000006260: 7E000000
	v_lshrrev_b32_e32 v42, 5, v0                               // 000000006264: 20540085
	v_lshlrev_b32_e32 v43, 6, v42                              // 000000006268: 24565486
	v_and_b32_e32 v42, 31, v0                                  // 00000000626C: 2654009F
	v_lshrrev_b32_e32 v44, 4, v42                              // 000000006270: 20585484
	v_add_u32_e32 v43, v44, v43                                // 000000006274: 6856572C
	v_and_b32_e32 v42, 15, v0                                  // 000000006278: 2654008F
	v_lshlrev_b32_e32 v42, 1, v42                              // 00000000627C: 24545481
	v_add_u32_e32 v43, v42, v43                                // 000000006280: 6856572A
	v_lshlrev_b32_e32 v42, 2, v43                              // 000000006284: 24545682
	s_mov_b32 s60, 0                                           // 000000006288: BEBC0080
	s_lshr_b32 s61, s7, 1                                      // 00000000628C: 8F3D8107
	s_mul_i32 s61, s61, 0x200                                  // 000000006290: 923DFF3D 00000200
	s_add_u32 s60, s61, s60                                    // 000000006298: 803C3C3D
	s_and_b32 s61, s7, 1                                       // 00000000629C: 863D8107
	s_mul_i32 s61, s61, 0x80                                   // 0000000062A0: 923DFF3D 00000080
	s_add_u32 s60, s61, s60                                    // 0000000062A8: 803C3C3D
	v_add_u32_e64 v42, v42, s60                                // 0000000062AC: D134002A 0000792A
	ds_write_b32 v42, v96 offset:11776                         // 0000000062B4: D81A2E00 0000602A
	ds_write_b32 v42, v97 offset:12800                         // 0000000062BC: D81A3200 0000612A
	s_waitcnt lgkmcnt(0)                                       // 0000000062C4: BF8CC07F
	s_barrier                                                  // 0000000062C8: BF8A0000
	v_and_b32_e32 v42, 31, v0                                  // 0000000062CC: 2654009F
	v_lshrrev_b32_e32 v42, 4, v42                              // 0000000062D0: 20545484
	v_lshlrev_b32_e32 v43, 5, v42                              // 0000000062D4: 24565485
	v_lshrrev_b32_e32 v42, 5, v0                               // 0000000062D8: 20540085
	v_lshlrev_b32_e32 v42, 7, v42                              // 0000000062DC: 24545487
	v_add_u32_e32 v43, v42, v43                                // 0000000062E0: 6856572A
	v_and_b32_e32 v42, 15, v0                                  // 0000000062E4: 2654008F
	v_lshlrev_b32_e32 v42, 1, v42                              // 0000000062E8: 24545481
	v_add_u32_e32 v43, v42, v43                                // 0000000062EC: 6856572A
	v_lshlrev_b32_e32 v42, 2, v43                              // 0000000062F0: 24545682
	ds_read_b64 v[96:97], v42 offset:11776                     // 0000000062F4: D8EC2E00 6000002A
	ds_read_b64 v[98:99], v42 offset:12032                     // 0000000062FC: D8EC2F00 6200002A
	ds_read_b64 v[100:101], v42 offset:12800                   // 000000006304: D8EC3200 6400002A
	ds_read_b64 v[102:103], v42 offset:13056                   // 00000000630C: D8EC3300 6600002A
	s_waitcnt lgkmcnt(0)                                       // 000000006314: BF8CC07F
	s_barrier                                                  // 000000006318: BF8A0000
	v_mov_b32_e32 v112, 0                                      // 00000000631C: 7EE00280
	v_mov_b32_e32 v128, 0                                      // 000000006320: 7F000280
	v_mov_b32_e32 v113, 0                                      // 000000006324: 7EE20280
	v_mov_b32_e32 v129, 0                                      // 000000006328: 7F020280
	v_mov_b32_e32 v114, 0                                      // 00000000632C: 7EE40280
	v_mov_b32_e32 v130, 0                                      // 000000006330: 7F040280
	v_mov_b32_e32 v115, 0                                      // 000000006334: 7EE60280
	v_mov_b32_e32 v131, 0                                      // 000000006338: 7F060280
	v_mov_b32_e32 v116, 0                                      // 00000000633C: 7EE80280
	v_mov_b32_e32 v132, 0                                      // 000000006340: 7F080280
	v_mov_b32_e32 v117, 0                                      // 000000006344: 7EEA0280
	v_mov_b32_e32 v133, 0                                      // 000000006348: 7F0A0280
	v_mov_b32_e32 v118, 0                                      // 00000000634C: 7EEC0280
	v_mov_b32_e32 v134, 0                                      // 000000006350: 7F0C0280
	v_mov_b32_e32 v119, 0                                      // 000000006354: 7EEE0280
	v_mov_b32_e32 v135, 0                                      // 000000006358: 7F0E0280
	v_mov_b32_e32 v120, 0                                      // 00000000635C: 7EF00280
	v_mov_b32_e32 v136, 0                                      // 000000006360: 7F100280
	v_mov_b32_e32 v121, 0                                      // 000000006364: 7EF20280
	v_mov_b32_e32 v137, 0                                      // 000000006368: 7F120280
	v_mov_b32_e32 v122, 0                                      // 00000000636C: 7EF40280
	v_mov_b32_e32 v138, 0                                      // 000000006370: 7F140280
	v_mov_b32_e32 v123, 0                                      // 000000006374: 7EF60280
	v_mov_b32_e32 v139, 0                                      // 000000006378: 7F160280
	v_mov_b32_e32 v124, 0                                      // 00000000637C: 7EF80280
	v_mov_b32_e32 v140, 0                                      // 000000006380: 7F180280
	v_mov_b32_e32 v125, 0                                      // 000000006384: 7EFA0280
	v_mov_b32_e32 v141, 0                                      // 000000006388: 7F1A0280
	v_mov_b32_e32 v126, 0                                      // 00000000638C: 7EFC0280
	v_mov_b32_e32 v142, 0                                      // 000000006390: 7F1C0280
	v_mov_b32_e32 v127, 0                                      // 000000006394: 7EFE0280
	v_mov_b32_e32 v143, 0                                      // 000000006398: 7F1E0280
	ds_write_b64 v4, v[112:113] offset:11776                   // 00000000639C: D89A2E00 00007004
	ds_write_b64 v4, v[114:115] offset:13952                   // 0000000063A4: D89A3680 00007204
	ds_write_b64 v4, v[116:117] offset:16128                   // 0000000063AC: D89A3F00 00007404
	ds_write_b64 v4, v[118:119] offset:18304                   // 0000000063B4: D89A4780 00007604
	s_mov_b32 s80, 0                                           // 0000000063BC: BED00080

00000000000063c0 <label_0D70>:
	s_waitcnt vmcnt(13) lgkmcnt(0)                             // 0000000063C0: BF8C007D
	s_barrier                                                  // 0000000063C4: BF8A0000
	v_mfma_f32_16x16x128_f8f6f4 v[112:115], a[0:7], v[96:103], 0// 0000000063C8: D3AD0070 0A02C100
	buffer_load_dword v21, v6, s[16:19], 0 offen               // 0000000063D0: E0501000 80041506
	buffer_load_dwordx4 a[64:67], v34, s[12:15], 0 offen       // 0000000063D8: E05C1000 80834022
	buffer_load_dwordx4 a[68:71], v34, s[12:15], 0 offen offset:1024// 0000000063E0: E05C1400 80834422
	buffer_load_dwordx4 a[72:75], v35, s[12:15], 0 offen       // 0000000063E8: E05C1000 80834823
	buffer_load_dwordx4 a[76:79], v35, s[12:15], 0 offen offset:1024// 0000000063F0: E05C1400 80834C23
	v_mfma_f32_16x16x128_f8f6f4 v[116:119], a[8:15], v[96:103], 0// 0000000063F8: D3AD0074 0A02C108
	ds_read_b32 v64, v5 offset:11776                           // 000000006400: D86C2E00 40000005
	ds_read_b32 v65, v5 offset:16128                           // 000000006408: D86C3F00 41000005
	ds_read_b32 v66, v5 offset:11784                           // 000000006410: D86C2E08 42000005
	ds_read_b32 v67, v5 offset:16136                           // 000000006418: D86C3F08 43000005
	ds_read_b32 v68, v5 offset:11808                           // 000000006420: D86C2E20 44000005
	ds_read_b32 v69, v5 offset:16160                           // 000000006428: D86C3F20 45000005
	ds_read_b32 v70, v5 offset:11816                           // 000000006430: D86C2E28 46000005
	ds_read_b32 v71, v5 offset:16168                           // 000000006438: D86C3F28 47000005
	s_waitcnt vmcnt(13)                                        // 000000006440: BF8C0F7D
	v_mfma_f32_16x16x128_f8f6f4 v[120:123], a[16:23], v[96:103], 0// 000000006444: D3AD0078 0A02C110
	buffer_load_dwordx4 a[80:83], v36, s[12:15], 0 offen       // 00000000644C: E05C1000 80835024
	buffer_load_dwordx4 a[84:87], v36, s[12:15], 0 offen offset:1024// 000000006454: E05C1400 80835424
	buffer_load_dwordx4 a[88:91], v37, s[12:15], 0 offen       // 00000000645C: E05C1000 80835825
	buffer_load_dwordx4 a[92:95], v37, s[12:15], 0 offen offset:1024// 000000006464: E05C1400 80835C25
	v_mfma_f32_16x16x128_f8f6f4 v[124:127], a[24:31], v[96:103], 0// 00000000646C: D3AD007C 0A02C118
	ds_write_b64 v4, v[128:129] offset:29184                   // 000000006474: D89A7200 00008004
	ds_write_b64 v4, v[130:131] offset:31360                   // 00000000647C: D89A7A80 00008204
	ds_write_b64 v4, v[132:133] offset:33536                   // 000000006484: D89A8300 00008404
	ds_write_b64 v4, v[134:135] offset:35712                   // 00000000648C: D89A8B80 00008604
	v_mul_f32_dpp v42, v19, v28 row_newbcast:0 row_mask:0xf bank_mask:0xf// 000000006494: 0A5438FA FF015013
	v_mov_b32_e32 v43, v42                                     // 00000000649C: 7E56032A
	v_pk_mul_f32 v[112:113], v[42:43], v[112:113]              // 0000000064A0: D3B14070 1802E12A
	v_pk_mul_f32 v[114:115], v[42:43], v[114:115]              // 0000000064A8: D3B14072 1802E52A
	v_pk_mul_f32 v[116:117], v[42:43], v[116:117]              // 0000000064B0: D3B14074 1802E92A
	v_pk_mul_f32 v[118:119], v[42:43], v[118:119]              // 0000000064B8: D3B14076 1802ED2A
	v_mul_f32_dpp v42, v19, v28 row_newbcast:1 row_mask:0xf bank_mask:0xf// 0000000064C0: 0A5438FA FF015113
	v_mov_b32_e32 v43, v42                                     // 0000000064C8: 7E56032A
	v_pk_mul_f32 v[120:121], v[42:43], v[120:121]              // 0000000064CC: D3B14078 1802F12A
	v_pk_mul_f32 v[122:123], v[42:43], v[122:123]              // 0000000064D4: D3B1407A 1802F52A
	v_pk_mul_f32 v[124:125], v[42:43], v[124:125]              // 0000000064DC: D3B1407C 1802F92A
	v_pk_mul_f32 v[126:127], v[42:43], v[126:127]              // 0000000064E4: D3B1407E 1802FD2A
	s_add_u32 s60, 0x300, s80                                  // 0000000064EC: 803C50FF 00000300
	s_cmp_lt_u32 s60, s81                                      // 0000000064F4: BF0A513C
	s_cselect_b32 s56, s56, 0                                  // 0000000064F8: 85388038
	s_cselect_b32 s78, s78, 0                                  // 0000000064FC: 854E804E
	s_cselect_b32 s79, s79, 0                                  // 000000006500: 854F804F
	s_add_u32 s12, s56, s12                                    // 000000006504: 800C0C38
	s_addc_u32 s13, 0, s13                                     // 000000006508: 820D0D80
	s_add_u32 s16, s79, s16                                    // 00000000650C: 8010104F
	s_addc_u32 s17, 0, s17                                     // 000000006510: 82111180
	v_mov_b32_e32 v42, v23                                     // 000000006514: 7E540317
	v_mov_b32_e32 v43, v23                                     // 000000006518: 7E560317
	v_pk_mul_f32 v[112:113], v[42:43], v[112:113]              // 00000000651C: D3B14070 1802E12A
	v_pk_mul_f32 v[114:115], v[42:43], v[114:115]              // 000000006524: D3B14072 1802E52A
	v_pk_mul_f32 v[116:117], v[42:43], v[116:117]              // 00000000652C: D3B14074 1802E92A
	v_pk_mul_f32 v[118:119], v[42:43], v[118:119]              // 000000006534: D3B14076 1802ED2A
	v_pk_mul_f32 v[120:121], v[42:43], v[120:121]              // 00000000653C: D3B14078 1802F12A
	v_pk_mul_f32 v[122:123], v[42:43], v[122:123]              // 000000006544: D3B1407A 1802F52A
	v_pk_mul_f32 v[124:125], v[42:43], v[124:125]              // 00000000654C: D3B1407C 1802F92A
	v_pk_mul_f32 v[126:127], v[42:43], v[126:127]              // 000000006554: D3B1407E 1802FD2A
	v_cvt_pk_bf16_f32 v112, v112, v113                         // 00000000655C: D2680070 0002E370
	v_cvt_pk_bf16_f32 v113, v114, v115                         // 000000006564: D2680071 0002E772
	v_cvt_pk_bf16_f32 v114, v116, v117                         // 00000000656C: D2680072 0002EB74
	v_cvt_pk_bf16_f32 v115, v118, v119                         // 000000006574: D2680073 0002EF76
	v_cvt_pk_bf16_f32 v116, v120, v121                         // 00000000657C: D2680074 0002F378
	v_cvt_pk_bf16_f32 v117, v122, v123                         // 000000006584: D2680075 0002F77A
	v_cvt_pk_bf16_f32 v118, v124, v125                         // 00000000658C: D2680076 0002FB7C
	v_cvt_pk_bf16_f32 v119, v126, v127                         // 000000006594: D2680077 0002FF7E
	s_cmp_ge_u32 s80, 0x200                                    // 00000000659C: BF09FF50 00000200
	s_cselect_b32 s59, 0x200, s59                              // 0000000065A4: 853B3BFF 00000200
	s_waitcnt lgkmcnt(0)                                       // 0000000065AC: BF8CC07F
	s_barrier                                                  // 0000000065B0: BF8A0000
	s_setvskip s20, 0                                          // 0000000065B4: BF108014
	global_atomic_pk_add_bf16 v80, v64, s[8:9]                 // 0000000065B8: DD488000 00084050
	s_setvskip 0, 0                                            // 0000000065C0: BF108080
	s_setvskip s20, 0                                          // 0000000065C4: BF108014
	global_atomic_pk_add_bf16 v80, v65, s[8:9] offset:256      // 0000000065C8: DD488100 00084150
	s_setvskip 0, 0                                            // 0000000065D0: BF108080
	s_setvskip s20, 1                                          // 0000000065D4: BF108114
	global_atomic_pk_add_bf16 v82, v66, s[8:9]                 // 0000000065D8: DD488000 00084252
	s_setvskip 0, 0                                            // 0000000065E0: BF108080
	s_setvskip s20, 1                                          // 0000000065E4: BF108114
	global_atomic_pk_add_bf16 v82, v67, s[8:9] offset:256      // 0000000065E8: DD488100 00084352
	s_setvskip 0, 0                                            // 0000000065F0: BF108080
	s_setvskip s20, 2                                          // 0000000065F4: BF108214
	global_atomic_pk_add_bf16 v84, v68, s[8:9]                 // 0000000065F8: DD488000 00084454
	s_setvskip 0, 0                                            // 000000006600: BF108080
	s_setvskip s20, 2                                          // 000000006604: BF108214
	global_atomic_pk_add_bf16 v84, v69, s[8:9] offset:256      // 000000006608: DD488100 00084554
	s_setvskip 0, 0                                            // 000000006610: BF108080
	s_setvskip s20, 3                                          // 000000006614: BF108314
	global_atomic_pk_add_bf16 v86, v70, s[8:9]                 // 000000006618: DD488000 00084656
	s_setvskip 0, 0                                            // 000000006620: BF108080
	s_setvskip s20, 3                                          // 000000006624: BF108314
	global_atomic_pk_add_bf16 v86, v71, s[8:9] offset:256      // 000000006628: DD488100 00084756
	s_setvskip 0, 0                                            // 000000006630: BF108080
	s_add_u32 s8, s59, s8                                      // 000000006634: 8008083B
	s_addc_u32 s9, 0, s9                                       // 000000006638: 82090980
	s_addk_i32 s80, 0x100                                      // 00000000663C: B7500100
	s_cmp_lt_i32 s80, s81                                      // 000000006640: BF045150
	s_cbranch_scc0 label_09F2                                  // 000000006644: BF84FBE0
	s_waitcnt vmcnt(13) lgkmcnt(0)                             // 000000006648: BF8C007D
	s_barrier                                                  // 00000000664C: BF8A0000
	v_mfma_f32_16x16x128_f8f6f4 v[128:131], a[32:39], v[96:103], 0// 000000006650: D3AD0080 0A02C120
	buffer_load_dword v19, v6, s[16:19], 0 offen               // 000000006658: E0501000 80041306
	buffer_load_dwordx4 a[0:3], v34, s[12:15], 0 offen         // 000000006660: E05C1000 80830022
	buffer_load_dwordx4 a[4:7], v34, s[12:15], 0 offen offset:1024// 000000006668: E05C1400 80830422
	buffer_load_dwordx4 a[8:11], v35, s[12:15], 0 offen        // 000000006670: E05C1000 80830823
	buffer_load_dwordx4 a[12:15], v35, s[12:15], 0 offen offset:1024// 000000006678: E05C1400 80830C23
	v_mfma_f32_16x16x128_f8f6f4 v[132:135], a[40:47], v[96:103], 0// 000000006680: D3AD0084 0A02C128
	ds_read_b32 v64, v5 offset:29184                           // 000000006688: D86C7200 40000005
	ds_read_b32 v65, v5 offset:33536                           // 000000006690: D86C8300 41000005
	ds_read_b32 v66, v5 offset:29192                           // 000000006698: D86C7208 42000005
	ds_read_b32 v67, v5 offset:33544                           // 0000000066A0: D86C8308 43000005
	ds_read_b32 v68, v5 offset:29216                           // 0000000066A8: D86C7220 44000005
	ds_read_b32 v69, v5 offset:33568                           // 0000000066B0: D86C8320 45000005
	ds_read_b32 v70, v5 offset:29224                           // 0000000066B8: D86C7228 46000005
	ds_read_b32 v71, v5 offset:33576                           // 0000000066C0: D86C8328 47000005
	s_waitcnt vmcnt(13)                                        // 0000000066C8: BF8C0F7D
	v_mfma_f32_16x16x128_f8f6f4 v[136:139], a[48:55], v[96:103], 0// 0000000066CC: D3AD0088 0A02C130
	buffer_load_dwordx4 a[16:19], v36, s[12:15], 0 offen       // 0000000066D4: E05C1000 80831024
	buffer_load_dwordx4 a[20:23], v36, s[12:15], 0 offen offset:1024// 0000000066DC: E05C1400 80831424
	buffer_load_dwordx4 a[24:27], v37, s[12:15], 0 offen       // 0000000066E4: E05C1000 80831825
	buffer_load_dwordx4 a[28:31], v37, s[12:15], 0 offen offset:1024// 0000000066EC: E05C1400 80831C25
	v_mfma_f32_16x16x128_f8f6f4 v[140:143], a[56:63], v[96:103], 0// 0000000066F4: D3AD008C 0A02C138
	ds_write_b64 v4, v[112:113] offset:11776                   // 0000000066FC: D89A2E00 00007004
	ds_write_b64 v4, v[114:115] offset:13952                   // 000000006704: D89A3680 00007204
	ds_write_b64 v4, v[116:117] offset:16128                   // 00000000670C: D89A3F00 00007404
	ds_write_b64 v4, v[118:119] offset:18304                   // 000000006714: D89A4780 00007604
	v_mul_f32_dpp v42, v20, v28 row_newbcast:0 row_mask:0xf bank_mask:0xf// 00000000671C: 0A5438FA FF015014
	v_mov_b32_e32 v43, v42                                     // 000000006724: 7E56032A
	v_pk_mul_f32 v[128:129], v[42:43], v[128:129]              // 000000006728: D3B14080 1803012A
	v_pk_mul_f32 v[130:131], v[42:43], v[130:131]              // 000000006730: D3B14082 1803052A
	v_pk_mul_f32 v[132:133], v[42:43], v[132:133]              // 000000006738: D3B14084 1803092A
	v_pk_mul_f32 v[134:135], v[42:43], v[134:135]              // 000000006740: D3B14086 18030D2A
	v_mul_f32_dpp v42, v20, v28 row_newbcast:1 row_mask:0xf bank_mask:0xf// 000000006748: 0A5438FA FF015114
	v_mov_b32_e32 v43, v42                                     // 000000006750: 7E56032A
	v_pk_mul_f32 v[136:137], v[42:43], v[136:137]              // 000000006754: D3B14088 1803112A
	v_pk_mul_f32 v[138:139], v[42:43], v[138:139]              // 00000000675C: D3B1408A 1803152A
	v_pk_mul_f32 v[140:141], v[42:43], v[140:141]              // 000000006764: D3B1408C 1803192A
	v_pk_mul_f32 v[142:143], v[42:43], v[142:143]              // 00000000676C: D3B1408E 18031D2A
	s_add_u32 s60, 0x300, s80                                  // 000000006774: 803C50FF 00000300
	s_cmp_lt_u32 s60, s81                                      // 00000000677C: BF0A513C
	s_cselect_b32 s56, s56, 0                                  // 000000006780: 85388038
	s_cselect_b32 s78, s78, 0                                  // 000000006784: 854E804E
	s_cselect_b32 s79, s79, 0                                  // 000000006788: 854F804F
	s_add_u32 s12, s56, s12                                    // 00000000678C: 800C0C38
	s_addc_u32 s13, 0, s13                                     // 000000006790: 820D0D80
	s_add_u32 s16, s79, s16                                    // 000000006794: 8010104F
	s_addc_u32 s17, 0, s17                                     // 000000006798: 82111180
	v_mov_b32_e32 v42, v23                                     // 00000000679C: 7E540317
	v_mov_b32_e32 v43, v23                                     // 0000000067A0: 7E560317
	v_pk_mul_f32 v[128:129], v[42:43], v[128:129]              // 0000000067A4: D3B14080 1803012A
	v_pk_mul_f32 v[130:131], v[42:43], v[130:131]              // 0000000067AC: D3B14082 1803052A
	v_pk_mul_f32 v[132:133], v[42:43], v[132:133]              // 0000000067B4: D3B14084 1803092A
	v_pk_mul_f32 v[134:135], v[42:43], v[134:135]              // 0000000067BC: D3B14086 18030D2A
	v_pk_mul_f32 v[136:137], v[42:43], v[136:137]              // 0000000067C4: D3B14088 1803112A
	v_pk_mul_f32 v[138:139], v[42:43], v[138:139]              // 0000000067CC: D3B1408A 1803152A
	v_pk_mul_f32 v[140:141], v[42:43], v[140:141]              // 0000000067D4: D3B1408C 1803192A
	v_pk_mul_f32 v[142:143], v[42:43], v[142:143]              // 0000000067DC: D3B1408E 18031D2A
	v_cvt_pk_bf16_f32 v128, v128, v129                         // 0000000067E4: D2680080 00030380
	v_cvt_pk_bf16_f32 v129, v130, v131                         // 0000000067EC: D2680081 00030782
	v_cvt_pk_bf16_f32 v130, v132, v133                         // 0000000067F4: D2680082 00030B84
	v_cvt_pk_bf16_f32 v131, v134, v135                         // 0000000067FC: D2680083 00030F86
	v_cvt_pk_bf16_f32 v132, v136, v137                         // 000000006804: D2680084 00031388
	v_cvt_pk_bf16_f32 v133, v138, v139                         // 00000000680C: D2680085 0003178A
	v_cvt_pk_bf16_f32 v134, v140, v141                         // 000000006814: D2680086 00031B8C
	v_cvt_pk_bf16_f32 v135, v142, v143                         // 00000000681C: D2680087 00031F8E
	s_cmp_ge_u32 s80, 0x200                                    // 000000006824: BF09FF50 00000200
	s_cselect_b32 s59, 0x200, s59                              // 00000000682C: 853B3BFF 00000200
	s_waitcnt lgkmcnt(0)                                       // 000000006834: BF8CC07F
	s_barrier                                                  // 000000006838: BF8A0000
	s_setvskip s20, 0                                          // 00000000683C: BF108014
	global_atomic_pk_add_bf16 v80, v64, s[8:9]                 // 000000006840: DD488000 00084050
	s_setvskip 0, 0                                            // 000000006848: BF108080
	s_setvskip s20, 0                                          // 00000000684C: BF108014
	global_atomic_pk_add_bf16 v80, v65, s[8:9] offset:256      // 000000006850: DD488100 00084150
	s_setvskip 0, 0                                            // 000000006858: BF108080
	s_setvskip s20, 1                                          // 00000000685C: BF108114
	global_atomic_pk_add_bf16 v82, v66, s[8:9]                 // 000000006860: DD488000 00084252
	s_setvskip 0, 0                                            // 000000006868: BF108080
	s_setvskip s20, 1                                          // 00000000686C: BF108114
	global_atomic_pk_add_bf16 v82, v67, s[8:9] offset:256      // 000000006870: DD488100 00084352
	s_setvskip 0, 0                                            // 000000006878: BF108080
	s_setvskip s20, 2                                          // 00000000687C: BF108214
	global_atomic_pk_add_bf16 v84, v68, s[8:9]                 // 000000006880: DD488000 00084454
	s_setvskip 0, 0                                            // 000000006888: BF108080
	s_setvskip s20, 2                                          // 00000000688C: BF108214
	global_atomic_pk_add_bf16 v84, v69, s[8:9] offset:256      // 000000006890: DD488100 00084554
	s_setvskip 0, 0                                            // 000000006898: BF108080
	s_setvskip s20, 3                                          // 00000000689C: BF108314
	global_atomic_pk_add_bf16 v86, v70, s[8:9]                 // 0000000068A0: DD488000 00084656
	s_setvskip 0, 0                                            // 0000000068A8: BF108080
	s_setvskip s20, 3                                          // 0000000068AC: BF108314
	global_atomic_pk_add_bf16 v86, v71, s[8:9] offset:256      // 0000000068B0: DD488100 00084756
	s_setvskip 0, 0                                            // 0000000068B8: BF108080
	s_add_u32 s8, s59, s8                                      // 0000000068BC: 8008083B
	s_addc_u32 s9, 0, s9                                       // 0000000068C0: 82090980
	s_addk_i32 s80, 0x100                                      // 0000000068C4: B7500100
	s_cmp_lt_i32 s80, s81                                      // 0000000068C8: BF045150
	s_cbranch_scc0 label_09F2                                  // 0000000068CC: BF84FB3E
	s_waitcnt vmcnt(13) lgkmcnt(0)                             // 0000000068D0: BF8C007D
	s_barrier                                                  // 0000000068D4: BF8A0000
	v_mfma_f32_16x16x128_f8f6f4 v[112:115], a[64:71], v[96:103], 0// 0000000068D8: D3AD0070 0A02C140
	buffer_load_dword v20, v6, s[16:19], 0 offen               // 0000000068E0: E0501000 80041406
	buffer_load_dwordx4 a[32:35], v34, s[12:15], 0 offen       // 0000000068E8: E05C1000 80832022
	buffer_load_dwordx4 a[36:39], v34, s[12:15], 0 offen offset:1024// 0000000068F0: E05C1400 80832422
	buffer_load_dwordx4 a[40:43], v35, s[12:15], 0 offen       // 0000000068F8: E05C1000 80832823
	buffer_load_dwordx4 a[44:47], v35, s[12:15], 0 offen offset:1024// 000000006900: E05C1400 80832C23
	v_mfma_f32_16x16x128_f8f6f4 v[116:119], a[72:79], v[96:103], 0// 000000006908: D3AD0074 0A02C148
	ds_read_b32 v64, v5 offset:11776                           // 000000006910: D86C2E00 40000005
	ds_read_b32 v65, v5 offset:16128                           // 000000006918: D86C3F00 41000005
	ds_read_b32 v66, v5 offset:11784                           // 000000006920: D86C2E08 42000005
	ds_read_b32 v67, v5 offset:16136                           // 000000006928: D86C3F08 43000005
	ds_read_b32 v68, v5 offset:11808                           // 000000006930: D86C2E20 44000005
	ds_read_b32 v69, v5 offset:16160                           // 000000006938: D86C3F20 45000005
	ds_read_b32 v70, v5 offset:11816                           // 000000006940: D86C2E28 46000005
	ds_read_b32 v71, v5 offset:16168                           // 000000006948: D86C3F28 47000005
	s_waitcnt vmcnt(13)                                        // 000000006950: BF8C0F7D
	v_mfma_f32_16x16x128_f8f6f4 v[120:123], a[80:87], v[96:103], 0// 000000006954: D3AD0078 0A02C150
	buffer_load_dwordx4 a[48:51], v36, s[12:15], 0 offen       // 00000000695C: E05C1000 80833024
	buffer_load_dwordx4 a[52:55], v36, s[12:15], 0 offen offset:1024// 000000006964: E05C1400 80833424
	buffer_load_dwordx4 a[56:59], v37, s[12:15], 0 offen       // 00000000696C: E05C1000 80833825
	buffer_load_dwordx4 a[60:63], v37, s[12:15], 0 offen offset:1024// 000000006974: E05C1400 80833C25
	v_mfma_f32_16x16x128_f8f6f4 v[124:127], a[88:95], v[96:103], 0// 00000000697C: D3AD007C 0A02C158
	ds_write_b64 v4, v[128:129] offset:29184                   // 000000006984: D89A7200 00008004
	ds_write_b64 v4, v[130:131] offset:31360                   // 00000000698C: D89A7A80 00008204
	ds_write_b64 v4, v[132:133] offset:33536                   // 000000006994: D89A8300 00008404
	ds_write_b64 v4, v[134:135] offset:35712                   // 00000000699C: D89A8B80 00008604
	v_mul_f32_dpp v42, v21, v28 row_newbcast:0 row_mask:0xf bank_mask:0xf// 0000000069A4: 0A5438FA FF015015
	v_mov_b32_e32 v43, v42                                     // 0000000069AC: 7E56032A
	v_pk_mul_f32 v[112:113], v[42:43], v[112:113]              // 0000000069B0: D3B14070 1802E12A
	v_pk_mul_f32 v[114:115], v[42:43], v[114:115]              // 0000000069B8: D3B14072 1802E52A
	v_pk_mul_f32 v[116:117], v[42:43], v[116:117]              // 0000000069C0: D3B14074 1802E92A
	v_pk_mul_f32 v[118:119], v[42:43], v[118:119]              // 0000000069C8: D3B14076 1802ED2A
	v_mul_f32_dpp v42, v21, v28 row_newbcast:1 row_mask:0xf bank_mask:0xf// 0000000069D0: 0A5438FA FF015115
	v_mov_b32_e32 v43, v42                                     // 0000000069D8: 7E56032A
	v_pk_mul_f32 v[120:121], v[42:43], v[120:121]              // 0000000069DC: D3B14078 1802F12A
	v_pk_mul_f32 v[122:123], v[42:43], v[122:123]              // 0000000069E4: D3B1407A 1802F52A
	v_pk_mul_f32 v[124:125], v[42:43], v[124:125]              // 0000000069EC: D3B1407C 1802F92A
	v_pk_mul_f32 v[126:127], v[42:43], v[126:127]              // 0000000069F4: D3B1407E 1802FD2A
	s_add_u32 s60, 0x300, s80                                  // 0000000069FC: 803C50FF 00000300
	s_cmp_lt_u32 s60, s81                                      // 000000006A04: BF0A513C
	s_cselect_b32 s56, s56, 0                                  // 000000006A08: 85388038
	s_cselect_b32 s78, s78, 0                                  // 000000006A0C: 854E804E
	s_cselect_b32 s79, s79, 0                                  // 000000006A10: 854F804F
	s_add_u32 s12, s56, s12                                    // 000000006A14: 800C0C38
	s_addc_u32 s13, 0, s13                                     // 000000006A18: 820D0D80
	s_add_u32 s16, s79, s16                                    // 000000006A1C: 8010104F
	s_addc_u32 s17, 0, s17                                     // 000000006A20: 82111180
	v_mov_b32_e32 v42, v23                                     // 000000006A24: 7E540317
	v_mov_b32_e32 v43, v23                                     // 000000006A28: 7E560317
	v_pk_mul_f32 v[112:113], v[42:43], v[112:113]              // 000000006A2C: D3B14070 1802E12A
	v_pk_mul_f32 v[114:115], v[42:43], v[114:115]              // 000000006A34: D3B14072 1802E52A
	v_pk_mul_f32 v[116:117], v[42:43], v[116:117]              // 000000006A3C: D3B14074 1802E92A
	v_pk_mul_f32 v[118:119], v[42:43], v[118:119]              // 000000006A44: D3B14076 1802ED2A
	v_pk_mul_f32 v[120:121], v[42:43], v[120:121]              // 000000006A4C: D3B14078 1802F12A
	v_pk_mul_f32 v[122:123], v[42:43], v[122:123]              // 000000006A54: D3B1407A 1802F52A
	v_pk_mul_f32 v[124:125], v[42:43], v[124:125]              // 000000006A5C: D3B1407C 1802F92A
	v_pk_mul_f32 v[126:127], v[42:43], v[126:127]              // 000000006A64: D3B1407E 1802FD2A
	v_cvt_pk_bf16_f32 v112, v112, v113                         // 000000006A6C: D2680070 0002E370
	v_cvt_pk_bf16_f32 v113, v114, v115                         // 000000006A74: D2680071 0002E772
	v_cvt_pk_bf16_f32 v114, v116, v117                         // 000000006A7C: D2680072 0002EB74
	v_cvt_pk_bf16_f32 v115, v118, v119                         // 000000006A84: D2680073 0002EF76
	v_cvt_pk_bf16_f32 v116, v120, v121                         // 000000006A8C: D2680074 0002F378
	v_cvt_pk_bf16_f32 v117, v122, v123                         // 000000006A94: D2680075 0002F77A
	v_cvt_pk_bf16_f32 v118, v124, v125                         // 000000006A9C: D2680076 0002FB7C
	v_cvt_pk_bf16_f32 v119, v126, v127                         // 000000006AA4: D2680077 0002FF7E
	s_cmp_ge_u32 s80, 0x200                                    // 000000006AAC: BF09FF50 00000200
	s_cselect_b32 s59, 0x200, s59                              // 000000006AB4: 853B3BFF 00000200
	s_waitcnt lgkmcnt(0)                                       // 000000006ABC: BF8CC07F
	s_barrier                                                  // 000000006AC0: BF8A0000
	s_setvskip s20, 0                                          // 000000006AC4: BF108014
	global_atomic_pk_add_bf16 v80, v64, s[8:9]                 // 000000006AC8: DD488000 00084050
	s_setvskip 0, 0                                            // 000000006AD0: BF108080
	s_setvskip s20, 0                                          // 000000006AD4: BF108014
	global_atomic_pk_add_bf16 v80, v65, s[8:9] offset:256      // 000000006AD8: DD488100 00084150
	s_setvskip 0, 0                                            // 000000006AE0: BF108080
	s_setvskip s20, 1                                          // 000000006AE4: BF108114
	global_atomic_pk_add_bf16 v82, v66, s[8:9]                 // 000000006AE8: DD488000 00084252
	s_setvskip 0, 0                                            // 000000006AF0: BF108080
	s_setvskip s20, 1                                          // 000000006AF4: BF108114
	global_atomic_pk_add_bf16 v82, v67, s[8:9] offset:256      // 000000006AF8: DD488100 00084352
	s_setvskip 0, 0                                            // 000000006B00: BF108080
	s_setvskip s20, 2                                          // 000000006B04: BF108214
	global_atomic_pk_add_bf16 v84, v68, s[8:9]                 // 000000006B08: DD488000 00084454
	s_setvskip 0, 0                                            // 000000006B10: BF108080
	s_setvskip s20, 2                                          // 000000006B14: BF108214
	global_atomic_pk_add_bf16 v84, v69, s[8:9] offset:256      // 000000006B18: DD488100 00084554
	s_setvskip 0, 0                                            // 000000006B20: BF108080
	s_setvskip s20, 3                                          // 000000006B24: BF108314
	global_atomic_pk_add_bf16 v86, v70, s[8:9]                 // 000000006B28: DD488000 00084656
	s_setvskip 0, 0                                            // 000000006B30: BF108080
	s_setvskip s20, 3                                          // 000000006B34: BF108314
	global_atomic_pk_add_bf16 v86, v71, s[8:9] offset:256      // 000000006B38: DD488100 00084756
	s_setvskip 0, 0                                            // 000000006B40: BF108080
	s_add_u32 s8, s59, s8                                      // 000000006B44: 8008083B
	s_addc_u32 s9, 0, s9                                       // 000000006B48: 82090980
	s_addk_i32 s80, 0x100                                      // 000000006B4C: B7500100
	s_cmp_lt_i32 s80, s81                                      // 000000006B50: BF045150
	s_cbranch_scc0 label_09F2                                  // 000000006B54: BF84FA9C
	s_waitcnt vmcnt(13) lgkmcnt(0)                             // 000000006B58: BF8C007D
	s_barrier                                                  // 000000006B5C: BF8A0000
	v_mfma_f32_16x16x128_f8f6f4 v[128:131], a[0:7], v[96:103], 0// 000000006B60: D3AD0080 0A02C100
	buffer_load_dword v21, v6, s[16:19], 0 offen               // 000000006B68: E0501000 80041506
	buffer_load_dwordx4 a[64:67], v34, s[12:15], 0 offen       // 000000006B70: E05C1000 80834022
	buffer_load_dwordx4 a[68:71], v34, s[12:15], 0 offen offset:1024// 000000006B78: E05C1400 80834422
	buffer_load_dwordx4 a[72:75], v35, s[12:15], 0 offen       // 000000006B80: E05C1000 80834823
	buffer_load_dwordx4 a[76:79], v35, s[12:15], 0 offen offset:1024// 000000006B88: E05C1400 80834C23
	v_mfma_f32_16x16x128_f8f6f4 v[132:135], a[8:15], v[96:103], 0// 000000006B90: D3AD0084 0A02C108
	ds_read_b32 v64, v5 offset:29184                           // 000000006B98: D86C7200 40000005
	ds_read_b32 v65, v5 offset:33536                           // 000000006BA0: D86C8300 41000005
	ds_read_b32 v66, v5 offset:29192                           // 000000006BA8: D86C7208 42000005
	ds_read_b32 v67, v5 offset:33544                           // 000000006BB0: D86C8308 43000005
	ds_read_b32 v68, v5 offset:29216                           // 000000006BB8: D86C7220 44000005
	ds_read_b32 v69, v5 offset:33568                           // 000000006BC0: D86C8320 45000005
	ds_read_b32 v70, v5 offset:29224                           // 000000006BC8: D86C7228 46000005
	ds_read_b32 v71, v5 offset:33576                           // 000000006BD0: D86C8328 47000005
	s_waitcnt vmcnt(13)                                        // 000000006BD8: BF8C0F7D
	v_mfma_f32_16x16x128_f8f6f4 v[136:139], a[16:23], v[96:103], 0// 000000006BDC: D3AD0088 0A02C110
	buffer_load_dwordx4 a[80:83], v36, s[12:15], 0 offen       // 000000006BE4: E05C1000 80835024
	buffer_load_dwordx4 a[84:87], v36, s[12:15], 0 offen offset:1024// 000000006BEC: E05C1400 80835424
	buffer_load_dwordx4 a[88:91], v37, s[12:15], 0 offen       // 000000006BF4: E05C1000 80835825
	buffer_load_dwordx4 a[92:95], v37, s[12:15], 0 offen offset:1024// 000000006BFC: E05C1400 80835C25
	v_mfma_f32_16x16x128_f8f6f4 v[140:143], a[24:31], v[96:103], 0// 000000006C04: D3AD008C 0A02C118
	ds_write_b64 v4, v[112:113] offset:11776                   // 000000006C0C: D89A2E00 00007004
	ds_write_b64 v4, v[114:115] offset:13952                   // 000000006C14: D89A3680 00007204
	ds_write_b64 v4, v[116:117] offset:16128                   // 000000006C1C: D89A3F00 00007404
	ds_write_b64 v4, v[118:119] offset:18304                   // 000000006C24: D89A4780 00007604
	v_mul_f32_dpp v42, v19, v28 row_newbcast:0 row_mask:0xf bank_mask:0xf// 000000006C2C: 0A5438FA FF015013
	v_mov_b32_e32 v43, v42                                     // 000000006C34: 7E56032A
	v_pk_mul_f32 v[128:129], v[42:43], v[128:129]              // 000000006C38: D3B14080 1803012A
	v_pk_mul_f32 v[130:131], v[42:43], v[130:131]              // 000000006C40: D3B14082 1803052A
	v_pk_mul_f32 v[132:133], v[42:43], v[132:133]              // 000000006C48: D3B14084 1803092A
	v_pk_mul_f32 v[134:135], v[42:43], v[134:135]              // 000000006C50: D3B14086 18030D2A
	v_mul_f32_dpp v42, v19, v28 row_newbcast:1 row_mask:0xf bank_mask:0xf// 000000006C58: 0A5438FA FF015113
	v_mov_b32_e32 v43, v42                                     // 000000006C60: 7E56032A
	v_pk_mul_f32 v[136:137], v[42:43], v[136:137]              // 000000006C64: D3B14088 1803112A
	v_pk_mul_f32 v[138:139], v[42:43], v[138:139]              // 000000006C6C: D3B1408A 1803152A
	v_pk_mul_f32 v[140:141], v[42:43], v[140:141]              // 000000006C74: D3B1408C 1803192A
	v_pk_mul_f32 v[142:143], v[42:43], v[142:143]              // 000000006C7C: D3B1408E 18031D2A
	s_add_u32 s60, 0x300, s80                                  // 000000006C84: 803C50FF 00000300
	s_cmp_lt_u32 s60, s81                                      // 000000006C8C: BF0A513C
	s_cselect_b32 s56, s56, 0                                  // 000000006C90: 85388038
	s_cselect_b32 s78, s78, 0                                  // 000000006C94: 854E804E
	s_cselect_b32 s79, s79, 0                                  // 000000006C98: 854F804F
	s_add_u32 s12, s56, s12                                    // 000000006C9C: 800C0C38
	s_addc_u32 s13, 0, s13                                     // 000000006CA0: 820D0D80
	s_add_u32 s16, s79, s16                                    // 000000006CA4: 8010104F
	s_addc_u32 s17, 0, s17                                     // 000000006CA8: 82111180
	v_mov_b32_e32 v42, v23                                     // 000000006CAC: 7E540317
	v_mov_b32_e32 v43, v23                                     // 000000006CB0: 7E560317
	v_pk_mul_f32 v[128:129], v[42:43], v[128:129]              // 000000006CB4: D3B14080 1803012A
	v_pk_mul_f32 v[130:131], v[42:43], v[130:131]              // 000000006CBC: D3B14082 1803052A
	v_pk_mul_f32 v[132:133], v[42:43], v[132:133]              // 000000006CC4: D3B14084 1803092A
	v_pk_mul_f32 v[134:135], v[42:43], v[134:135]              // 000000006CCC: D3B14086 18030D2A
	v_pk_mul_f32 v[136:137], v[42:43], v[136:137]              // 000000006CD4: D3B14088 1803112A
	v_pk_mul_f32 v[138:139], v[42:43], v[138:139]              // 000000006CDC: D3B1408A 1803152A
	v_pk_mul_f32 v[140:141], v[42:43], v[140:141]              // 000000006CE4: D3B1408C 1803192A
	v_pk_mul_f32 v[142:143], v[42:43], v[142:143]              // 000000006CEC: D3B1408E 18031D2A
	v_cvt_pk_bf16_f32 v128, v128, v129                         // 000000006CF4: D2680080 00030380
	v_cvt_pk_bf16_f32 v129, v130, v131                         // 000000006CFC: D2680081 00030782
	v_cvt_pk_bf16_f32 v130, v132, v133                         // 000000006D04: D2680082 00030B84
	v_cvt_pk_bf16_f32 v131, v134, v135                         // 000000006D0C: D2680083 00030F86
	v_cvt_pk_bf16_f32 v132, v136, v137                         // 000000006D14: D2680084 00031388
	v_cvt_pk_bf16_f32 v133, v138, v139                         // 000000006D1C: D2680085 0003178A
	v_cvt_pk_bf16_f32 v134, v140, v141                         // 000000006D24: D2680086 00031B8C
	v_cvt_pk_bf16_f32 v135, v142, v143                         // 000000006D2C: D2680087 00031F8E
	s_cmp_ge_u32 s80, 0x200                                    // 000000006D34: BF09FF50 00000200
	s_cselect_b32 s59, 0x200, s59                              // 000000006D3C: 853B3BFF 00000200
	s_waitcnt lgkmcnt(0)                                       // 000000006D44: BF8CC07F
	s_barrier                                                  // 000000006D48: BF8A0000
	s_setvskip s20, 0                                          // 000000006D4C: BF108014
	global_atomic_pk_add_bf16 v80, v64, s[8:9]                 // 000000006D50: DD488000 00084050
	s_setvskip 0, 0                                            // 000000006D58: BF108080
	s_setvskip s20, 0                                          // 000000006D5C: BF108014
	global_atomic_pk_add_bf16 v80, v65, s[8:9] offset:256      // 000000006D60: DD488100 00084150
	s_setvskip 0, 0                                            // 000000006D68: BF108080
	s_setvskip s20, 1                                          // 000000006D6C: BF108114
	global_atomic_pk_add_bf16 v82, v66, s[8:9]                 // 000000006D70: DD488000 00084252
	s_setvskip 0, 0                                            // 000000006D78: BF108080
	s_setvskip s20, 1                                          // 000000006D7C: BF108114
	global_atomic_pk_add_bf16 v82, v67, s[8:9] offset:256      // 000000006D80: DD488100 00084352
	s_setvskip 0, 0                                            // 000000006D88: BF108080
	s_setvskip s20, 2                                          // 000000006D8C: BF108214
	global_atomic_pk_add_bf16 v84, v68, s[8:9]                 // 000000006D90: DD488000 00084454
	s_setvskip 0, 0                                            // 000000006D98: BF108080
	s_setvskip s20, 2                                          // 000000006D9C: BF108214
	global_atomic_pk_add_bf16 v84, v69, s[8:9] offset:256      // 000000006DA0: DD488100 00084554
	s_setvskip 0, 0                                            // 000000006DA8: BF108080
	s_setvskip s20, 3                                          // 000000006DAC: BF108314
	global_atomic_pk_add_bf16 v86, v70, s[8:9]                 // 000000006DB0: DD488000 00084656
	s_setvskip 0, 0                                            // 000000006DB8: BF108080
	s_setvskip s20, 3                                          // 000000006DBC: BF108314
	global_atomic_pk_add_bf16 v86, v71, s[8:9] offset:256      // 000000006DC0: DD488100 00084756
	s_setvskip 0, 0                                            // 000000006DC8: BF108080
	s_add_u32 s8, s59, s8                                      // 000000006DCC: 8008083B
	s_addc_u32 s9, 0, s9                                       // 000000006DD0: 82090980
	s_addk_i32 s80, 0x100                                      // 000000006DD4: B7500100
	s_cmp_lt_i32 s80, s81                                      // 000000006DD8: BF045150
	s_cbranch_scc0 label_09F2                                  // 000000006DDC: BF84F9FA
	s_waitcnt vmcnt(13) lgkmcnt(0)                             // 000000006DE0: BF8C007D
	s_barrier                                                  // 000000006DE4: BF8A0000
	v_mfma_f32_16x16x128_f8f6f4 v[112:115], a[32:39], v[96:103], 0// 000000006DE8: D3AD0070 0A02C120
	buffer_load_dword v19, v6, s[16:19], 0 offen               // 000000006DF0: E0501000 80041306
	buffer_load_dwordx4 a[0:3], v34, s[12:15], 0 offen         // 000000006DF8: E05C1000 80830022
	buffer_load_dwordx4 a[4:7], v34, s[12:15], 0 offen offset:1024// 000000006E00: E05C1400 80830422
	buffer_load_dwordx4 a[8:11], v35, s[12:15], 0 offen        // 000000006E08: E05C1000 80830823
	buffer_load_dwordx4 a[12:15], v35, s[12:15], 0 offen offset:1024// 000000006E10: E05C1400 80830C23
	v_mfma_f32_16x16x128_f8f6f4 v[116:119], a[40:47], v[96:103], 0// 000000006E18: D3AD0074 0A02C128
	ds_read_b32 v64, v5 offset:11776                           // 000000006E20: D86C2E00 40000005
	ds_read_b32 v65, v5 offset:16128                           // 000000006E28: D86C3F00 41000005
	ds_read_b32 v66, v5 offset:11784                           // 000000006E30: D86C2E08 42000005
	ds_read_b32 v67, v5 offset:16136                           // 000000006E38: D86C3F08 43000005
	ds_read_b32 v68, v5 offset:11808                           // 000000006E40: D86C2E20 44000005
	ds_read_b32 v69, v5 offset:16160                           // 000000006E48: D86C3F20 45000005
	ds_read_b32 v70, v5 offset:11816                           // 000000006E50: D86C2E28 46000005
	ds_read_b32 v71, v5 offset:16168                           // 000000006E58: D86C3F28 47000005
	s_waitcnt vmcnt(13)                                        // 000000006E60: BF8C0F7D
	v_mfma_f32_16x16x128_f8f6f4 v[120:123], a[48:55], v[96:103], 0// 000000006E64: D3AD0078 0A02C130
	buffer_load_dwordx4 a[16:19], v36, s[12:15], 0 offen       // 000000006E6C: E05C1000 80831024
	buffer_load_dwordx4 a[20:23], v36, s[12:15], 0 offen offset:1024// 000000006E74: E05C1400 80831424
	buffer_load_dwordx4 a[24:27], v37, s[12:15], 0 offen       // 000000006E7C: E05C1000 80831825
	buffer_load_dwordx4 a[28:31], v37, s[12:15], 0 offen offset:1024// 000000006E84: E05C1400 80831C25
	v_mfma_f32_16x16x128_f8f6f4 v[124:127], a[56:63], v[96:103], 0// 000000006E8C: D3AD007C 0A02C138
	ds_write_b64 v4, v[128:129] offset:29184                   // 000000006E94: D89A7200 00008004
	ds_write_b64 v4, v[130:131] offset:31360                   // 000000006E9C: D89A7A80 00008204
	ds_write_b64 v4, v[132:133] offset:33536                   // 000000006EA4: D89A8300 00008404
	ds_write_b64 v4, v[134:135] offset:35712                   // 000000006EAC: D89A8B80 00008604
	v_mul_f32_dpp v42, v20, v28 row_newbcast:0 row_mask:0xf bank_mask:0xf// 000000006EB4: 0A5438FA FF015014
	v_mov_b32_e32 v43, v42                                     // 000000006EBC: 7E56032A
	v_pk_mul_f32 v[112:113], v[42:43], v[112:113]              // 000000006EC0: D3B14070 1802E12A
	v_pk_mul_f32 v[114:115], v[42:43], v[114:115]              // 000000006EC8: D3B14072 1802E52A
	v_pk_mul_f32 v[116:117], v[42:43], v[116:117]              // 000000006ED0: D3B14074 1802E92A
	v_pk_mul_f32 v[118:119], v[42:43], v[118:119]              // 000000006ED8: D3B14076 1802ED2A
	v_mul_f32_dpp v42, v20, v28 row_newbcast:1 row_mask:0xf bank_mask:0xf// 000000006EE0: 0A5438FA FF015114
	v_mov_b32_e32 v43, v42                                     // 000000006EE8: 7E56032A
	v_pk_mul_f32 v[120:121], v[42:43], v[120:121]              // 000000006EEC: D3B14078 1802F12A
	v_pk_mul_f32 v[122:123], v[42:43], v[122:123]              // 000000006EF4: D3B1407A 1802F52A
	v_pk_mul_f32 v[124:125], v[42:43], v[124:125]              // 000000006EFC: D3B1407C 1802F92A
	v_pk_mul_f32 v[126:127], v[42:43], v[126:127]              // 000000006F04: D3B1407E 1802FD2A
	s_add_u32 s60, 0x300, s80                                  // 000000006F0C: 803C50FF 00000300
	s_cmp_lt_u32 s60, s81                                      // 000000006F14: BF0A513C
	s_cselect_b32 s56, s56, 0                                  // 000000006F18: 85388038
	s_cselect_b32 s78, s78, 0                                  // 000000006F1C: 854E804E
	s_cselect_b32 s79, s79, 0                                  // 000000006F20: 854F804F
	s_add_u32 s12, s56, s12                                    // 000000006F24: 800C0C38
	s_addc_u32 s13, 0, s13                                     // 000000006F28: 820D0D80
	s_add_u32 s16, s79, s16                                    // 000000006F2C: 8010104F
	s_addc_u32 s17, 0, s17                                     // 000000006F30: 82111180
	v_mov_b32_e32 v42, v23                                     // 000000006F34: 7E540317
	v_mov_b32_e32 v43, v23                                     // 000000006F38: 7E560317
	v_pk_mul_f32 v[112:113], v[42:43], v[112:113]              // 000000006F3C: D3B14070 1802E12A
	v_pk_mul_f32 v[114:115], v[42:43], v[114:115]              // 000000006F44: D3B14072 1802E52A
	v_pk_mul_f32 v[116:117], v[42:43], v[116:117]              // 000000006F4C: D3B14074 1802E92A
	v_pk_mul_f32 v[118:119], v[42:43], v[118:119]              // 000000006F54: D3B14076 1802ED2A
	v_pk_mul_f32 v[120:121], v[42:43], v[120:121]              // 000000006F5C: D3B14078 1802F12A
	v_pk_mul_f32 v[122:123], v[42:43], v[122:123]              // 000000006F64: D3B1407A 1802F52A
	v_pk_mul_f32 v[124:125], v[42:43], v[124:125]              // 000000006F6C: D3B1407C 1802F92A
	v_pk_mul_f32 v[126:127], v[42:43], v[126:127]              // 000000006F74: D3B1407E 1802FD2A
	v_cvt_pk_bf16_f32 v112, v112, v113                         // 000000006F7C: D2680070 0002E370
	v_cvt_pk_bf16_f32 v113, v114, v115                         // 000000006F84: D2680071 0002E772
	v_cvt_pk_bf16_f32 v114, v116, v117                         // 000000006F8C: D2680072 0002EB74
	v_cvt_pk_bf16_f32 v115, v118, v119                         // 000000006F94: D2680073 0002EF76
	v_cvt_pk_bf16_f32 v116, v120, v121                         // 000000006F9C: D2680074 0002F378
	v_cvt_pk_bf16_f32 v117, v122, v123                         // 000000006FA4: D2680075 0002F77A
	v_cvt_pk_bf16_f32 v118, v124, v125                         // 000000006FAC: D2680076 0002FB7C
	v_cvt_pk_bf16_f32 v119, v126, v127                         // 000000006FB4: D2680077 0002FF7E
	s_cmp_ge_u32 s80, 0x200                                    // 000000006FBC: BF09FF50 00000200
	s_cselect_b32 s59, 0x200, s59                              // 000000006FC4: 853B3BFF 00000200
	s_waitcnt lgkmcnt(0)                                       // 000000006FCC: BF8CC07F
	s_barrier                                                  // 000000006FD0: BF8A0000
	s_setvskip s20, 0                                          // 000000006FD4: BF108014
	global_atomic_pk_add_bf16 v80, v64, s[8:9]                 // 000000006FD8: DD488000 00084050
	s_setvskip 0, 0                                            // 000000006FE0: BF108080
	s_setvskip s20, 0                                          // 000000006FE4: BF108014
	global_atomic_pk_add_bf16 v80, v65, s[8:9] offset:256      // 000000006FE8: DD488100 00084150
	s_setvskip 0, 0                                            // 000000006FF0: BF108080
	s_setvskip s20, 1                                          // 000000006FF4: BF108114
	global_atomic_pk_add_bf16 v82, v66, s[8:9]                 // 000000006FF8: DD488000 00084252
	s_setvskip 0, 0                                            // 000000007000: BF108080
	s_setvskip s20, 1                                          // 000000007004: BF108114
	global_atomic_pk_add_bf16 v82, v67, s[8:9] offset:256      // 000000007008: DD488100 00084352
	s_setvskip 0, 0                                            // 000000007010: BF108080
	s_setvskip s20, 2                                          // 000000007014: BF108214
	global_atomic_pk_add_bf16 v84, v68, s[8:9]                 // 000000007018: DD488000 00084454
	s_setvskip 0, 0                                            // 000000007020: BF108080
	s_setvskip s20, 2                                          // 000000007024: BF108214
	global_atomic_pk_add_bf16 v84, v69, s[8:9] offset:256      // 000000007028: DD488100 00084554
	s_setvskip 0, 0                                            // 000000007030: BF108080
	s_setvskip s20, 3                                          // 000000007034: BF108314
	global_atomic_pk_add_bf16 v86, v70, s[8:9]                 // 000000007038: DD488000 00084656
	s_setvskip 0, 0                                            // 000000007040: BF108080
	s_setvskip s20, 3                                          // 000000007044: BF108314
	global_atomic_pk_add_bf16 v86, v71, s[8:9] offset:256      // 000000007048: DD488100 00084756
	s_setvskip 0, 0                                            // 000000007050: BF108080
	s_add_u32 s8, s59, s8                                      // 000000007054: 8008083B
	s_addc_u32 s9, 0, s9                                       // 000000007058: 82090980
	s_addk_i32 s80, 0x100                                      // 00000000705C: B7500100
	s_cmp_lt_i32 s80, s81                                      // 000000007060: BF045150
	s_cbranch_scc0 label_09F2                                  // 000000007064: BF84F958
	s_waitcnt vmcnt(13) lgkmcnt(0)                             // 000000007068: BF8C007D
	s_barrier                                                  // 00000000706C: BF8A0000
	v_mfma_f32_16x16x128_f8f6f4 v[128:131], a[64:71], v[96:103], 0// 000000007070: D3AD0080 0A02C140
	buffer_load_dword v20, v6, s[16:19], 0 offen               // 000000007078: E0501000 80041406
	buffer_load_dwordx4 a[32:35], v34, s[12:15], 0 offen       // 000000007080: E05C1000 80832022
	buffer_load_dwordx4 a[36:39], v34, s[12:15], 0 offen offset:1024// 000000007088: E05C1400 80832422
	buffer_load_dwordx4 a[40:43], v35, s[12:15], 0 offen       // 000000007090: E05C1000 80832823
	buffer_load_dwordx4 a[44:47], v35, s[12:15], 0 offen offset:1024// 000000007098: E05C1400 80832C23
	v_mfma_f32_16x16x128_f8f6f4 v[132:135], a[72:79], v[96:103], 0// 0000000070A0: D3AD0084 0A02C148
	ds_read_b32 v64, v5 offset:29184                           // 0000000070A8: D86C7200 40000005
	ds_read_b32 v65, v5 offset:33536                           // 0000000070B0: D86C8300 41000005
	ds_read_b32 v66, v5 offset:29192                           // 0000000070B8: D86C7208 42000005
	ds_read_b32 v67, v5 offset:33544                           // 0000000070C0: D86C8308 43000005
	ds_read_b32 v68, v5 offset:29216                           // 0000000070C8: D86C7220 44000005
	ds_read_b32 v69, v5 offset:33568                           // 0000000070D0: D86C8320 45000005
	ds_read_b32 v70, v5 offset:29224                           // 0000000070D8: D86C7228 46000005
	ds_read_b32 v71, v5 offset:33576                           // 0000000070E0: D86C8328 47000005
	s_waitcnt vmcnt(13)                                        // 0000000070E8: BF8C0F7D
	v_mfma_f32_16x16x128_f8f6f4 v[136:139], a[80:87], v[96:103], 0// 0000000070EC: D3AD0088 0A02C150
	buffer_load_dwordx4 a[48:51], v36, s[12:15], 0 offen       // 0000000070F4: E05C1000 80833024
	buffer_load_dwordx4 a[52:55], v36, s[12:15], 0 offen offset:1024// 0000000070FC: E05C1400 80833424
	buffer_load_dwordx4 a[56:59], v37, s[12:15], 0 offen       // 000000007104: E05C1000 80833825
	buffer_load_dwordx4 a[60:63], v37, s[12:15], 0 offen offset:1024// 00000000710C: E05C1400 80833C25
	v_mfma_f32_16x16x128_f8f6f4 v[140:143], a[88:95], v[96:103], 0// 000000007114: D3AD008C 0A02C158
	ds_write_b64 v4, v[112:113] offset:11776                   // 00000000711C: D89A2E00 00007004
	ds_write_b64 v4, v[114:115] offset:13952                   // 000000007124: D89A3680 00007204
	ds_write_b64 v4, v[116:117] offset:16128                   // 00000000712C: D89A3F00 00007404
	ds_write_b64 v4, v[118:119] offset:18304                   // 000000007134: D89A4780 00007604
	v_mul_f32_dpp v42, v21, v28 row_newbcast:0 row_mask:0xf bank_mask:0xf// 00000000713C: 0A5438FA FF015015
	v_mov_b32_e32 v43, v42                                     // 000000007144: 7E56032A
	v_pk_mul_f32 v[128:129], v[42:43], v[128:129]              // 000000007148: D3B14080 1803012A
	v_pk_mul_f32 v[130:131], v[42:43], v[130:131]              // 000000007150: D3B14082 1803052A
	v_pk_mul_f32 v[132:133], v[42:43], v[132:133]              // 000000007158: D3B14084 1803092A
	v_pk_mul_f32 v[134:135], v[42:43], v[134:135]              // 000000007160: D3B14086 18030D2A
	v_mul_f32_dpp v42, v21, v28 row_newbcast:1 row_mask:0xf bank_mask:0xf// 000000007168: 0A5438FA FF015115
	v_mov_b32_e32 v43, v42                                     // 000000007170: 7E56032A
	v_pk_mul_f32 v[136:137], v[42:43], v[136:137]              // 000000007174: D3B14088 1803112A
	v_pk_mul_f32 v[138:139], v[42:43], v[138:139]              // 00000000717C: D3B1408A 1803152A
	v_pk_mul_f32 v[140:141], v[42:43], v[140:141]              // 000000007184: D3B1408C 1803192A
	v_pk_mul_f32 v[142:143], v[42:43], v[142:143]              // 00000000718C: D3B1408E 18031D2A
	s_add_u32 s60, 0x300, s80                                  // 000000007194: 803C50FF 00000300
	s_cmp_lt_u32 s60, s81                                      // 00000000719C: BF0A513C
	s_cselect_b32 s56, s56, 0                                  // 0000000071A0: 85388038
	s_cselect_b32 s78, s78, 0                                  // 0000000071A4: 854E804E
	s_cselect_b32 s79, s79, 0                                  // 0000000071A8: 854F804F
	s_add_u32 s12, s56, s12                                    // 0000000071AC: 800C0C38
	s_addc_u32 s13, 0, s13                                     // 0000000071B0: 820D0D80
	s_add_u32 s16, s79, s16                                    // 0000000071B4: 8010104F
	s_addc_u32 s17, 0, s17                                     // 0000000071B8: 82111180
	v_mov_b32_e32 v42, v23                                     // 0000000071BC: 7E540317
	v_mov_b32_e32 v43, v23                                     // 0000000071C0: 7E560317
	v_pk_mul_f32 v[128:129], v[42:43], v[128:129]              // 0000000071C4: D3B14080 1803012A
	v_pk_mul_f32 v[130:131], v[42:43], v[130:131]              // 0000000071CC: D3B14082 1803052A
	v_pk_mul_f32 v[132:133], v[42:43], v[132:133]              // 0000000071D4: D3B14084 1803092A
	v_pk_mul_f32 v[134:135], v[42:43], v[134:135]              // 0000000071DC: D3B14086 18030D2A
	v_pk_mul_f32 v[136:137], v[42:43], v[136:137]              // 0000000071E4: D3B14088 1803112A
	v_pk_mul_f32 v[138:139], v[42:43], v[138:139]              // 0000000071EC: D3B1408A 1803152A
	v_pk_mul_f32 v[140:141], v[42:43], v[140:141]              // 0000000071F4: D3B1408C 1803192A
	v_pk_mul_f32 v[142:143], v[42:43], v[142:143]              // 0000000071FC: D3B1408E 18031D2A
	v_cvt_pk_bf16_f32 v128, v128, v129                         // 000000007204: D2680080 00030380
	v_cvt_pk_bf16_f32 v129, v130, v131                         // 00000000720C: D2680081 00030782
	v_cvt_pk_bf16_f32 v130, v132, v133                         // 000000007214: D2680082 00030B84
	v_cvt_pk_bf16_f32 v131, v134, v135                         // 00000000721C: D2680083 00030F86
	v_cvt_pk_bf16_f32 v132, v136, v137                         // 000000007224: D2680084 00031388
	v_cvt_pk_bf16_f32 v133, v138, v139                         // 00000000722C: D2680085 0003178A
	v_cvt_pk_bf16_f32 v134, v140, v141                         // 000000007234: D2680086 00031B8C
	v_cvt_pk_bf16_f32 v135, v142, v143                         // 00000000723C: D2680087 00031F8E
	s_cmp_ge_u32 s80, 0x200                                    // 000000007244: BF09FF50 00000200
	s_cselect_b32 s59, 0x200, s59                              // 00000000724C: 853B3BFF 00000200
	s_waitcnt lgkmcnt(0)                                       // 000000007254: BF8CC07F
	s_barrier                                                  // 000000007258: BF8A0000
	s_setvskip s20, 0                                          // 00000000725C: BF108014
	global_atomic_pk_add_bf16 v80, v64, s[8:9]                 // 000000007260: DD488000 00084050
	s_setvskip 0, 0                                            // 000000007268: BF108080
	s_setvskip s20, 0                                          // 00000000726C: BF108014
	global_atomic_pk_add_bf16 v80, v65, s[8:9] offset:256      // 000000007270: DD488100 00084150
	s_setvskip 0, 0                                            // 000000007278: BF108080
	s_setvskip s20, 1                                          // 00000000727C: BF108114
	global_atomic_pk_add_bf16 v82, v66, s[8:9]                 // 000000007280: DD488000 00084252
	s_setvskip 0, 0                                            // 000000007288: BF108080
	s_setvskip s20, 1                                          // 00000000728C: BF108114
	global_atomic_pk_add_bf16 v82, v67, s[8:9] offset:256      // 000000007290: DD488100 00084352
	s_setvskip 0, 0                                            // 000000007298: BF108080
	s_setvskip s20, 2                                          // 00000000729C: BF108214
	global_atomic_pk_add_bf16 v84, v68, s[8:9]                 // 0000000072A0: DD488000 00084454
	s_setvskip 0, 0                                            // 0000000072A8: BF108080
	s_setvskip s20, 2                                          // 0000000072AC: BF108214
	global_atomic_pk_add_bf16 v84, v69, s[8:9] offset:256      // 0000000072B0: DD488100 00084554
	s_setvskip 0, 0                                            // 0000000072B8: BF108080
	s_setvskip s20, 3                                          // 0000000072BC: BF108314
	global_atomic_pk_add_bf16 v86, v70, s[8:9]                 // 0000000072C0: DD488000 00084656
	s_setvskip 0, 0                                            // 0000000072C8: BF108080
	s_setvskip s20, 3                                          // 0000000072CC: BF108314
	global_atomic_pk_add_bf16 v86, v71, s[8:9] offset:256      // 0000000072D0: DD488100 00084756
	s_setvskip 0, 0                                            // 0000000072D8: BF108080
	s_add_u32 s8, s59, s8                                      // 0000000072DC: 8008083B
	s_addc_u32 s9, 0, s9                                       // 0000000072E0: 82090980
	s_addk_i32 s80, 0x100                                      // 0000000072E4: B7500100
	s_cmp_lt_i32 s80, s81                                      // 0000000072E8: BF045150
	s_cbranch_scc0 label_09F2                                  // 0000000072EC: BF84F8B6
	s_branch label_0D70                                        // 0000000072F0: BF82FC33

00000000000072f4 <label_113D>:
	s_cmp_ge_u32 s59, 0                                        // 0000000072F4: BF09803B
	s_cselect_b32 s59, 0x200, s59                              // 0000000072F8: 853B3BFF 00000200
	s_waitcnt lgkmcnt(0)                                       // 000000007300: BF8CC07F
	s_barrier                                                  // 000000007304: BF8A0000
	s_cmp_eq_u32 s64, 0x100                                    // 000000007308: BF06FF40 00000100
	s_cbranch_scc0 label_1181                                  // 000000007310: BF84003C
	ds_write_b64 v4, v[112:113] offset:11776                   // 000000007314: D89A2E00 00007004
	ds_write_b64 v4, v[114:115] offset:13952                   // 00000000731C: D89A3680 00007204
	ds_write_b64 v4, v[116:117] offset:16128                   // 000000007324: D89A3F00 00007404
	ds_write_b64 v4, v[118:119] offset:18304                   // 00000000732C: D89A4780 00007604
	s_waitcnt lgkmcnt(0)                                       // 000000007334: BF8CC07F
	s_barrier                                                  // 000000007338: BF8A0000
	ds_read_b32 v64, v5 offset:11776                           // 00000000733C: D86C2E00 40000005
	ds_read_b32 v65, v5 offset:16128                           // 000000007344: D86C3F00 41000005
	ds_read_b32 v66, v5 offset:11784                           // 00000000734C: D86C2E08 42000005
	ds_read_b32 v67, v5 offset:16136                           // 000000007354: D86C3F08 43000005
	ds_read_b32 v68, v5 offset:11808                           // 00000000735C: D86C2E20 44000005
	ds_read_b32 v69, v5 offset:16160                           // 000000007364: D86C3F20 45000005
	ds_read_b32 v70, v5 offset:11816                           // 00000000736C: D86C2E28 46000005
	ds_read_b32 v71, v5 offset:16168                           // 000000007374: D86C3F28 47000005
	s_waitcnt lgkmcnt(0)                                       // 00000000737C: BF8CC07F
	s_setvskip s20, 0                                          // 000000007380: BF108014
	global_atomic_pk_add_bf16 v80, v64, s[8:9]                 // 000000007384: DD488000 00084050
	s_setvskip 0, 0                                            // 00000000738C: BF108080
	s_setvskip s20, 0                                          // 000000007390: BF108014
	global_atomic_pk_add_bf16 v80, v65, s[8:9] offset:256      // 000000007394: DD488100 00084150
	s_setvskip 0, 0                                            // 00000000739C: BF108080
	s_setvskip s20, 1                                          // 0000000073A0: BF108114
	global_atomic_pk_add_bf16 v82, v66, s[8:9]                 // 0000000073A4: DD488000 00084252
	s_setvskip 0, 0                                            // 0000000073AC: BF108080
	s_setvskip s20, 1                                          // 0000000073B0: BF108114
	global_atomic_pk_add_bf16 v82, v67, s[8:9] offset:256      // 0000000073B4: DD488100 00084352
	s_setvskip 0, 0                                            // 0000000073BC: BF108080
	s_setvskip s20, 2                                          // 0000000073C0: BF108214
	global_atomic_pk_add_bf16 v84, v68, s[8:9]                 // 0000000073C4: DD488000 00084454
	s_setvskip 0, 0                                            // 0000000073CC: BF108080
	s_setvskip s20, 2                                          // 0000000073D0: BF108214
	global_atomic_pk_add_bf16 v84, v69, s[8:9] offset:256      // 0000000073D4: DD488100 00084554
	s_setvskip 0, 0                                            // 0000000073DC: BF108080
	s_setvskip s20, 3                                          // 0000000073E0: BF108314
	global_atomic_pk_add_bf16 v86, v70, s[8:9]                 // 0000000073E4: DD488000 00084656
	s_setvskip 0, 0                                            // 0000000073EC: BF108080
	s_setvskip s20, 3                                          // 0000000073F0: BF108314
	global_atomic_pk_add_bf16 v86, v71, s[8:9] offset:256      // 0000000073F4: DD488100 00084756
	s_setvskip 0, 0                                            // 0000000073FC: BF108080
	s_branch label_11EF                                        // 000000007400: BF82006E

0000000000007404 <label_1181>:
	ds_read_b32 v64, v5 offset:11776                           // 000000007404: D86C2E00 40000005
	ds_read_b32 v65, v5 offset:16128                           // 00000000740C: D86C3F00 41000005
	ds_read_b32 v66, v5 offset:11784                           // 000000007414: D86C2E08 42000005
	ds_read_b32 v67, v5 offset:16136                           // 00000000741C: D86C3F08 43000005
	ds_read_b32 v68, v5 offset:11808                           // 000000007424: D86C2E20 44000005
	ds_read_b32 v69, v5 offset:16160                           // 00000000742C: D86C3F20 45000005
	ds_read_b32 v70, v5 offset:11816                           // 000000007434: D86C2E28 46000005
	ds_read_b32 v71, v5 offset:16168                           // 00000000743C: D86C3F28 47000005
	s_waitcnt lgkmcnt(0)                                       // 000000007444: BF8CC07F
	s_setvskip s20, 0                                          // 000000007448: BF108014
	global_atomic_pk_add_bf16 v80, v64, s[8:9]                 // 00000000744C: DD488000 00084050
	s_setvskip 0, 0                                            // 000000007454: BF108080
	s_setvskip s20, 0                                          // 000000007458: BF108014
	global_atomic_pk_add_bf16 v80, v65, s[8:9] offset:256      // 00000000745C: DD488100 00084150
	s_setvskip 0, 0                                            // 000000007464: BF108080
	s_setvskip s20, 1                                          // 000000007468: BF108114
	global_atomic_pk_add_bf16 v82, v66, s[8:9]                 // 00000000746C: DD488000 00084252
	s_setvskip 0, 0                                            // 000000007474: BF108080
	s_setvskip s20, 1                                          // 000000007478: BF108114
	global_atomic_pk_add_bf16 v82, v67, s[8:9] offset:256      // 00000000747C: DD488100 00084352
	s_setvskip 0, 0                                            // 000000007484: BF108080
	s_setvskip s20, 2                                          // 000000007488: BF108214
	global_atomic_pk_add_bf16 v84, v68, s[8:9]                 // 00000000748C: DD488000 00084454
	s_setvskip 0, 0                                            // 000000007494: BF108080
	s_setvskip s20, 2                                          // 000000007498: BF108214
	global_atomic_pk_add_bf16 v84, v69, s[8:9] offset:256      // 00000000749C: DD488100 00084554
	s_setvskip 0, 0                                            // 0000000074A4: BF108080
	s_setvskip s20, 3                                          // 0000000074A8: BF108314
	global_atomic_pk_add_bf16 v86, v70, s[8:9]                 // 0000000074AC: DD488000 00084656
	s_setvskip 0, 0                                            // 0000000074B4: BF108080
	s_setvskip s20, 3                                          // 0000000074B8: BF108314
	global_atomic_pk_add_bf16 v86, v71, s[8:9] offset:256      // 0000000074BC: DD488100 00084756
	s_setvskip 0, 0                                            // 0000000074C4: BF108080
	s_add_u32 s8, s59, s8                                      // 0000000074C8: 8008083B
	s_addc_u32 s9, 0, s9                                       // 0000000074CC: 82090980
	ds_write_b64 v4, v[128:129] offset:29184                   // 0000000074D0: D89A7200 00008004
	ds_write_b64 v4, v[130:131] offset:31360                   // 0000000074D8: D89A7A80 00008204
	ds_write_b64 v4, v[132:133] offset:33536                   // 0000000074E0: D89A8300 00008404
	ds_write_b64 v4, v[134:135] offset:35712                   // 0000000074E8: D89A8B80 00008604
	s_waitcnt lgkmcnt(0)                                       // 0000000074F0: BF8CC07F
	s_barrier                                                  // 0000000074F4: BF8A0000
	ds_read_b32 v64, v5 offset:29184                           // 0000000074F8: D86C7200 40000005
	ds_read_b32 v65, v5 offset:33536                           // 000000007500: D86C8300 41000005
	ds_read_b32 v66, v5 offset:29192                           // 000000007508: D86C7208 42000005
	ds_read_b32 v67, v5 offset:33544                           // 000000007510: D86C8308 43000005
	ds_read_b32 v68, v5 offset:29216                           // 000000007518: D86C7220 44000005
	ds_read_b32 v69, v5 offset:33568                           // 000000007520: D86C8320 45000005
	ds_read_b32 v70, v5 offset:29224                           // 000000007528: D86C7228 46000005
	ds_read_b32 v71, v5 offset:33576                           // 000000007530: D86C8328 47000005
	s_waitcnt lgkmcnt(0)                                       // 000000007538: BF8CC07F
	s_setvskip s20, 0                                          // 00000000753C: BF108014
	global_atomic_pk_add_bf16 v80, v64, s[8:9]                 // 000000007540: DD488000 00084050
	s_setvskip 0, 0                                            // 000000007548: BF108080
	s_setvskip s20, 0                                          // 00000000754C: BF108014
	global_atomic_pk_add_bf16 v80, v65, s[8:9] offset:256      // 000000007550: DD488100 00084150
	s_setvskip 0, 0                                            // 000000007558: BF108080
	s_setvskip s20, 1                                          // 00000000755C: BF108114
	global_atomic_pk_add_bf16 v82, v66, s[8:9]                 // 000000007560: DD488000 00084252
	s_setvskip 0, 0                                            // 000000007568: BF108080
	s_setvskip s20, 1                                          // 00000000756C: BF108114
	global_atomic_pk_add_bf16 v82, v67, s[8:9] offset:256      // 000000007570: DD488100 00084352
	s_setvskip 0, 0                                            // 000000007578: BF108080
	s_setvskip s20, 2                                          // 00000000757C: BF108214
	global_atomic_pk_add_bf16 v84, v68, s[8:9]                 // 000000007580: DD488000 00084454
	s_setvskip 0, 0                                            // 000000007588: BF108080
	s_setvskip s20, 2                                          // 00000000758C: BF108214
	global_atomic_pk_add_bf16 v84, v69, s[8:9] offset:256      // 000000007590: DD488100 00084554
	s_setvskip 0, 0                                            // 000000007598: BF108080
	s_setvskip s20, 3                                          // 00000000759C: BF108314
	global_atomic_pk_add_bf16 v86, v70, s[8:9]                 // 0000000075A0: DD488000 00084656
	s_setvskip 0, 0                                            // 0000000075A8: BF108080
	s_setvskip s20, 3                                          // 0000000075AC: BF108314
	global_atomic_pk_add_bf16 v86, v71, s[8:9] offset:256      // 0000000075B0: DD488100 00084756
	s_setvskip 0, 0                                            // 0000000075B8: BF108080

00000000000075bc <label_11EF>:
	s_waitcnt vmcnt(0) expcnt(0) lgkmcnt(0)                    // 0000000075BC: BF8C0000
	s_endpgm                                                   // 0000000075C0: BF810000
